;; amdgpu-corpus repo=ROCm/rocFFT kind=compiled arch=gfx906 opt=O3
	.text
	.amdgcn_target "amdgcn-amd-amdhsa--gfx906"
	.amdhsa_code_object_version 6
	.protected	bluestein_single_fwd_len1620_dim1_dp_op_CI_CI ; -- Begin function bluestein_single_fwd_len1620_dim1_dp_op_CI_CI
	.globl	bluestein_single_fwd_len1620_dim1_dp_op_CI_CI
	.p2align	8
	.type	bluestein_single_fwd_len1620_dim1_dp_op_CI_CI,@function
bluestein_single_fwd_len1620_dim1_dp_op_CI_CI: ; @bluestein_single_fwd_len1620_dim1_dp_op_CI_CI
; %bb.0:
	s_load_dwordx4 s[16:19], s[4:5], 0x28
	s_mov_b64 s[26:27], s[2:3]
	v_mul_u32_u24_e32 v1, 0x195, v0
	s_mov_b64 s[24:25], s[0:1]
	v_add_u32_sdwa v224, s6, v1 dst_sel:DWORD dst_unused:UNUSED_PAD src0_sel:DWORD src1_sel:WORD_1
	v_mov_b32_e32 v225, 0
	s_add_u32 s24, s24, s7
	s_waitcnt lgkmcnt(0)
	v_cmp_gt_u64_e32 vcc, s[16:17], v[224:225]
	s_addc_u32 s25, s25, 0
	s_and_saveexec_b64 s[0:1], vcc
	s_cbranch_execz .LBB0_34
; %bb.1:
	s_load_dwordx4 s[0:3], s[4:5], 0x18
	s_load_dwordx4 s[12:15], s[4:5], 0x0
	s_mov_b32 s21, 0xbfe2cf23
	s_load_dwordx2 s[16:17], s[4:5], 0x38
	s_mov_b32 s4, 0x372fe950
	s_waitcnt lgkmcnt(0)
	s_load_dwordx4 s[8:11], s[0:1], 0x0
	s_movk_i32 s0, 0xa2
	v_mul_lo_u16_sdwa v1, v1, s0 dst_sel:DWORD dst_unused:UNUSED_PAD src0_sel:WORD_1 src1_sel:DWORD
	v_sub_u16_e32 v228, v0, v1
	v_lshlrev_b32_e32 v227, 4, v228
	s_waitcnt lgkmcnt(0)
	v_mad_u64_u32 v[0:1], s[0:1], s10, v224, 0
	v_mad_u64_u32 v[2:3], s[0:1], s8, v228, 0
	v_add_co_u32_e64 v204, s[6:7], s12, v227
	v_mad_u64_u32 v[4:5], s[0:1], s11, v224, v[1:2]
	s_mov_b32 s5, 0x3fd3c6ef
	s_mov_b32 s22, 0x9b97f4a8
	v_mad_u64_u32 v[5:6], s[0:1], s9, v228, v[3:4]
	v_mov_b32_e32 v1, v4
	v_lshlrev_b64 v[0:1], 4, v[0:1]
	v_mov_b32_e32 v6, s19
	v_mov_b32_e32 v3, v5
	v_add_co_u32_e32 v4, vcc, s18, v0
	v_addc_co_u32_e32 v5, vcc, v6, v1, vcc
	v_lshlrev_b64 v[0:1], 4, v[2:3]
	v_mov_b32_e32 v2, s13
	v_add_co_u32_e32 v0, vcc, v4, v0
	s_mul_i32 s0, s9, 0xa20
	s_mul_hi_u32 s1, s8, 0xa20
	v_addc_co_u32_e32 v1, vcc, v5, v1, vcc
	v_addc_co_u32_e64 v22, vcc, 0, v2, s[6:7]
	s_add_i32 s0, s1, s0
	s_mul_i32 s1, s8, 0xa20
	v_mov_b32_e32 v3, s0
	v_add_co_u32_e32 v2, vcc, s1, v0
	v_addc_co_u32_e32 v3, vcc, v1, v3, vcc
	global_load_dwordx4 v[40:43], v[0:1], off
	global_load_dwordx4 v[44:47], v[2:3], off
	global_load_dwordx4 v[32:35], v227, s[12:13]
	global_load_dwordx4 v[12:15], v227, s[12:13] offset:2592
	v_mov_b32_e32 v1, s0
	v_add_co_u32_e32 v0, vcc, s1, v2
	v_addc_co_u32_e32 v1, vcc, v3, v1, vcc
	s_movk_i32 s8, 0x1000
	v_add_co_u32_e32 v4, vcc, s8, v204
	v_addc_co_u32_e32 v5, vcc, 0, v22, vcc
	v_mov_b32_e32 v2, s0
	v_add_co_u32_e32 v6, vcc, s1, v0
	v_addc_co_u32_e32 v7, vcc, v1, v2, vcc
	global_load_dwordx4 v[48:51], v[0:1], off
	global_load_dwordx4 v[24:27], v[4:5], off offset:1088
	s_nop 0
	global_load_dwordx4 v[0:3], v[4:5], off offset:3680
	v_mov_b32_e32 v4, s0
	v_add_co_u32_e32 v8, vcc, s1, v6
	v_addc_co_u32_e32 v9, vcc, v7, v4, vcc
	s_movk_i32 s8, 0x2000
	v_add_co_u32_e32 v4, vcc, s8, v204
	v_addc_co_u32_e32 v5, vcc, 0, v22, vcc
	global_load_dwordx4 v[52:55], v[6:7], off
	global_load_dwordx4 v[56:59], v[8:9], off
	v_mov_b32_e32 v10, s0
	v_add_co_u32_e32 v8, vcc, s1, v8
	v_addc_co_u32_e32 v9, vcc, v9, v10, vcc
	s_movk_i32 s8, 0x3000
	v_add_co_u32_e32 v16, vcc, s8, v204
	v_addc_co_u32_e32 v17, vcc, 0, v22, vcc
	global_load_dwordx4 v[4:7], v[4:5], off offset:2176
	v_add_co_u32_e32 v18, vcc, s1, v8
	global_load_dwordx4 v[60:63], v[8:9], off
	v_addc_co_u32_e32 v19, vcc, v9, v10, vcc
	global_load_dwordx4 v[64:67], v[18:19], off
	global_load_dwordx4 v[36:39], v[16:17], off offset:672
	global_load_dwordx4 v[8:11], v[16:17], off offset:3264
	v_mov_b32_e32 v16, s0
	v_add_co_u32_e32 v20, vcc, s1, v18
	v_addc_co_u32_e32 v21, vcc, v19, v16, vcc
	s_movk_i32 s8, 0x4000
	v_add_co_u32_e32 v16, vcc, s8, v204
	v_addc_co_u32_e32 v17, vcc, 0, v22, vcc
	global_load_dwordx4 v[68:71], v[20:21], off
	v_mov_b32_e32 v23, s0
	v_add_co_u32_e32 v20, vcc, s1, v20
	v_addc_co_u32_e32 v21, vcc, v21, v23, vcc
	s_movk_i32 s8, 0x5000
	v_add_co_u32_e32 v80, vcc, s8, v204
	global_load_dwordx4 v[16:19], v[16:17], off offset:1760
	v_addc_co_u32_e32 v81, vcc, 0, v22, vcc
	global_load_dwordx4 v[72:75], v[20:21], off
	v_mov_b32_e32 v22, s0
	v_add_co_u32_e32 v82, vcc, s1, v20
	v_addc_co_u32_e32 v83, vcc, v21, v22, vcc
	global_load_dwordx4 v[20:23], v[80:81], off offset:256
	global_load_dwordx4 v[76:79], v[82:83], off
	global_load_dwordx4 v[28:31], v[80:81], off offset:2848
	s_load_dwordx4 s[8:11], s[2:3], 0x0
	s_mov_b32 s0, 0x134454ff
	s_mov_b32 s1, 0x3fee6f0e
	;; [unrolled: 1-line block ×3, first 2 shown]
	s_waitcnt vmcnt(17)
	v_mul_f64 v[80:81], v[42:43], v[34:35]
	v_mul_f64 v[82:83], v[40:41], v[34:35]
	s_waitcnt vmcnt(16)
	v_mul_f64 v[84:85], v[46:47], v[14:15]
	v_mul_f64 v[86:87], v[44:45], v[14:15]
	s_mov_b32 s18, s0
	s_mov_b32 s2, 0x4755a5e
	;; [unrolled: 1-line block ×4, first 2 shown]
	v_fma_f64 v[40:41], v[40:41], v[32:33], v[80:81]
	v_fma_f64 v[42:43], v[42:43], v[32:33], -v[82:83]
	v_fma_f64 v[44:45], v[44:45], v[12:13], v[84:85]
	v_fma_f64 v[46:47], v[46:47], v[12:13], -v[86:87]
	ds_write_b128 v227, v[40:43]
	ds_write_b128 v227, v[44:47] offset:2592
	s_waitcnt vmcnt(14)
	v_mul_f64 v[40:41], v[50:51], v[26:27]
	v_mul_f64 v[42:43], v[48:49], v[26:27]
	s_mov_b32 s23, 0x3fe9e377
                                        ; implicit-def: $vgpr112_vgpr113
                                        ; implicit-def: $vgpr116_vgpr117
	v_fma_f64 v[40:41], v[48:49], v[24:25], v[40:41]
	s_waitcnt vmcnt(12)
	v_mul_f64 v[44:45], v[54:55], v[2:3]
	v_mul_f64 v[46:47], v[52:53], v[2:3]
	v_fma_f64 v[42:43], v[50:51], v[24:25], -v[42:43]
	v_fma_f64 v[44:45], v[52:53], v[0:1], v[44:45]
	v_fma_f64 v[46:47], v[54:55], v[0:1], -v[46:47]
	s_waitcnt vmcnt(10)
	v_mul_f64 v[80:81], v[58:59], v[6:7]
	v_mul_f64 v[82:83], v[56:57], v[6:7]
	s_waitcnt vmcnt(7)
	v_mul_f64 v[84:85], v[62:63], v[38:39]
	v_mul_f64 v[86:87], v[60:61], v[38:39]
	v_fma_f64 v[48:49], v[56:57], v[4:5], v[80:81]
	v_fma_f64 v[50:51], v[58:59], v[4:5], -v[82:83]
	s_waitcnt vmcnt(6)
	v_mul_f64 v[56:57], v[66:67], v[10:11]
	v_mul_f64 v[58:59], v[64:65], v[10:11]
	v_fma_f64 v[52:53], v[60:61], v[36:37], v[84:85]
	v_fma_f64 v[54:55], v[62:63], v[36:37], -v[86:87]
	v_fma_f64 v[56:57], v[64:65], v[8:9], v[56:57]
	v_fma_f64 v[58:59], v[66:67], v[8:9], -v[58:59]
	s_waitcnt vmcnt(4)
	v_mul_f64 v[60:61], v[70:71], v[18:19]
	v_mul_f64 v[62:63], v[68:69], v[18:19]
	s_waitcnt vmcnt(2)
	v_mul_f64 v[80:81], v[74:75], v[22:23]
	v_mul_f64 v[82:83], v[72:73], v[22:23]
	;; [unrolled: 3-line block ×3, first 2 shown]
	v_fma_f64 v[60:61], v[68:69], v[16:17], v[60:61]
	v_fma_f64 v[62:63], v[70:71], v[16:17], -v[62:63]
	v_fma_f64 v[64:65], v[72:73], v[20:21], v[80:81]
	v_fma_f64 v[66:67], v[74:75], v[20:21], -v[82:83]
	;; [unrolled: 2-line block ×3, first 2 shown]
	ds_write_b128 v227, v[40:43] offset:5184
	ds_write_b128 v227, v[44:47] offset:7776
	ds_write_b128 v227, v[48:51] offset:10368
	ds_write_b128 v227, v[52:55] offset:12960
	ds_write_b128 v227, v[56:59] offset:15552
	ds_write_b128 v227, v[60:63] offset:18144
	ds_write_b128 v227, v[64:67] offset:20736
	ds_write_b128 v227, v[68:71] offset:23328
	s_waitcnt lgkmcnt(0)
	s_barrier
	ds_read_b128 v[40:43], v227
	ds_read_b128 v[44:47], v227 offset:2592
	ds_read_b128 v[48:51], v227 offset:5184
	;; [unrolled: 1-line block ×6, first 2 shown]
	s_waitcnt lgkmcnt(4)
	v_add_f64 v[76:77], v[40:41], v[48:49]
	ds_read_b128 v[68:71], v227 offset:18144
	ds_read_b128 v[72:75], v227 offset:20736
	s_waitcnt lgkmcnt(4)
	v_add_f64 v[80:81], v[52:53], v[56:57]
	v_add_f64 v[88:89], v[54:55], -v[58:59]
	v_add_f64 v[90:91], v[48:49], -v[52:53]
	v_add_f64 v[96:97], v[42:43], v[50:51]
	s_waitcnt lgkmcnt(0)
	v_add_f64 v[94:95], v[48:49], v[72:73]
	v_add_f64 v[82:83], v[76:77], v[52:53]
	v_add_f64 v[84:85], v[50:51], -v[74:75]
	v_add_f64 v[92:93], v[72:73], -v[56:57]
	v_fma_f64 v[80:81], v[80:81], -0.5, v[40:41]
	v_add_f64 v[98:99], v[48:49], -v[72:73]
	v_add_f64 v[48:49], v[52:53], -v[48:49]
	ds_read_b128 v[76:79], v227 offset:23328
	v_fma_f64 v[40:41], v[94:95], -0.5, v[40:41]
	v_add_f64 v[82:83], v[82:83], v[56:57]
	v_add_f64 v[52:53], v[52:53], -v[56:57]
	v_add_f64 v[90:91], v[90:91], v[92:93]
	v_fma_f64 v[86:87], v[84:85], s[0:1], v[80:81]
	v_fma_f64 v[80:81], v[84:85], s[18:19], v[80:81]
	v_add_f64 v[92:93], v[54:55], v[58:59]
	v_add_f64 v[100:101], v[74:75], -v[58:59]
	v_fma_f64 v[94:95], v[88:89], s[18:19], v[40:41]
	v_add_f64 v[82:83], v[82:83], v[72:73]
	v_add_f64 v[72:73], v[56:57], -v[72:73]
	v_fma_f64 v[40:41], v[88:89], s[0:1], v[40:41]
	v_fma_f64 v[86:87], v[88:89], s[2:3], v[86:87]
	v_fma_f64 v[80:81], v[88:89], s[20:21], v[80:81]
	v_add_f64 v[88:89], v[96:97], v[54:55]
	v_fma_f64 v[92:93], v[92:93], -0.5, v[42:43]
	v_fma_f64 v[94:95], v[84:85], s[2:3], v[94:95]
	v_add_f64 v[56:57], v[50:51], -v[54:55]
	v_add_f64 v[48:49], v[48:49], v[72:73]
	v_add_f64 v[72:73], v[50:51], v[74:75]
	v_fma_f64 v[40:41], v[84:85], s[20:21], v[40:41]
	v_fma_f64 v[86:87], v[90:91], s[4:5], v[86:87]
	v_add_f64 v[84:85], v[88:89], v[58:59]
	v_add_f64 v[88:89], v[64:65], v[68:69]
	v_fma_f64 v[96:97], v[98:99], s[18:19], v[92:93]
	v_fma_f64 v[92:93], v[98:99], s[0:1], v[92:93]
	;; [unrolled: 1-line block ×3, first 2 shown]
	v_fma_f64 v[42:43], v[72:73], -0.5, v[42:43]
	v_fma_f64 v[72:73], v[48:49], s[4:5], v[40:41]
	v_add_f64 v[40:41], v[44:45], v[60:61]
	v_fma_f64 v[80:81], v[90:91], s[4:5], v[80:81]
	v_fma_f64 v[48:49], v[88:89], -0.5, v[44:45]
	s_waitcnt lgkmcnt(0)
	v_add_f64 v[88:89], v[62:63], -v[78:79]
	v_fma_f64 v[90:91], v[52:53], s[20:21], v[96:97]
	v_add_f64 v[56:57], v[56:57], v[100:101]
	v_add_f64 v[84:85], v[84:85], v[74:75]
	v_fma_f64 v[96:97], v[52:53], s[0:1], v[42:43]
	v_add_f64 v[40:41], v[40:41], v[64:65]
	v_add_f64 v[50:51], v[54:55], -v[50:51]
	v_add_f64 v[54:55], v[58:59], -v[74:75]
	v_fma_f64 v[42:43], v[52:53], s[18:19], v[42:43]
	v_fma_f64 v[58:59], v[88:89], s[0:1], v[48:49]
	v_add_f64 v[74:75], v[66:67], -v[70:71]
	v_add_f64 v[100:101], v[60:61], -v[64:65]
	v_add_f64 v[102:103], v[76:77], -v[68:69]
	v_fma_f64 v[52:53], v[52:53], s[2:3], v[92:93]
	v_add_f64 v[40:41], v[40:41], v[68:69]
	v_add_f64 v[92:93], v[60:61], v[76:77]
	v_fma_f64 v[96:97], v[98:99], s[20:21], v[96:97]
	v_add_f64 v[50:51], v[50:51], v[54:55]
	v_fma_f64 v[42:43], v[98:99], s[2:3], v[42:43]
	v_fma_f64 v[54:55], v[74:75], s[2:3], v[58:59]
	v_add_f64 v[58:59], v[100:101], v[102:103]
	v_fma_f64 v[98:99], v[56:57], s[4:5], v[52:53]
	v_add_f64 v[52:53], v[66:67], v[70:71]
	v_add_f64 v[100:101], v[40:41], v[76:77]
	;; [unrolled: 1-line block ×3, first 2 shown]
	v_fma_f64 v[44:45], v[92:93], -0.5, v[44:45]
	v_fma_f64 v[90:91], v[56:57], s[4:5], v[90:91]
	v_fma_f64 v[48:49], v[88:89], s[18:19], v[48:49]
	;; [unrolled: 1-line block ×5, first 2 shown]
	v_fma_f64 v[52:53], v[52:53], -0.5, v[46:47]
	v_add_f64 v[54:55], v[60:61], -v[76:77]
	v_add_f64 v[56:57], v[64:65], -v[60:61]
	;; [unrolled: 1-line block ×4, first 2 shown]
	v_fma_f64 v[40:41], v[40:41], -0.5, v[46:47]
	v_fma_f64 v[50:51], v[74:75], s[18:19], v[44:45]
	v_fma_f64 v[44:45], v[74:75], s[0:1], v[44:45]
	v_add_f64 v[46:47], v[46:47], v[62:63]
	v_fma_f64 v[48:49], v[74:75], s[20:21], v[48:49]
	v_fma_f64 v[68:69], v[54:55], s[18:19], v[52:53]
	v_add_f64 v[74:75], v[62:63], -v[66:67]
	v_add_f64 v[76:77], v[78:79], -v[70:71]
	v_add_f64 v[56:57], v[56:57], v[60:61]
	v_fma_f64 v[60:61], v[64:65], s[0:1], v[40:41]
	v_add_f64 v[62:63], v[66:67], -v[62:63]
	v_add_f64 v[102:103], v[70:71], -v[78:79]
	v_fma_f64 v[50:51], v[88:89], s[2:3], v[50:51]
	v_fma_f64 v[44:45], v[88:89], s[20:21], v[44:45]
	v_add_f64 v[46:47], v[46:47], v[66:67]
	v_fma_f64 v[52:53], v[54:55], s[0:1], v[52:53]
	v_fma_f64 v[40:41], v[64:65], s[18:19], v[40:41]
	;; [unrolled: 1-line block ×3, first 2 shown]
	v_add_f64 v[68:69], v[74:75], v[76:77]
	v_fma_f64 v[60:61], v[54:55], s[20:21], v[60:61]
	v_add_f64 v[62:63], v[62:63], v[102:103]
	v_fma_f64 v[50:51], v[56:57], s[4:5], v[50:51]
	v_fma_f64 v[56:57], v[56:57], s[4:5], v[44:45]
	v_add_f64 v[44:45], v[46:47], v[70:71]
	v_fma_f64 v[46:47], v[64:65], s[2:3], v[52:53]
	v_fma_f64 v[40:41], v[54:55], s[2:3], v[40:41]
	;; [unrolled: 1-line block ×5, first 2 shown]
	v_mul_f64 v[58:59], v[42:43], s[22:23]
	v_mul_f64 v[42:43], v[42:43], s[20:21]
	v_add_f64 v[66:67], v[44:45], v[78:79]
	v_fma_f64 v[44:45], v[68:69], s[4:5], v[46:47]
	v_fma_f64 v[46:47], v[62:63], s[4:5], v[40:41]
	v_mul_f64 v[62:63], v[56:57], s[4:5]
	v_mul_f64 v[64:65], v[48:49], s[22:23]
	v_mul_f64 v[60:61], v[54:55], s[0:1]
	v_fma_f64 v[68:69], v[52:53], s[2:3], v[58:59]
	v_mul_f64 v[58:59], v[50:51], s[18:19]
	v_fma_f64 v[88:89], v[52:53], s[22:23], v[42:43]
	v_mul_f64 v[74:75], v[44:45], s[22:23]
	v_mul_f64 v[70:71], v[46:47], s[4:5]
	v_fma_f64 v[62:63], v[46:47], s[0:1], -v[62:63]
	v_fma_f64 v[78:79], v[44:45], s[2:3], -v[64:65]
	v_fma_f64 v[76:77], v[50:51], s[4:5], v[60:61]
	v_add_f64 v[40:41], v[82:83], v[100:101]
	v_fma_f64 v[102:103], v[54:55], s[4:5], v[58:59]
	v_add_f64 v[42:43], v[84:85], v[66:67]
	v_fma_f64 v[74:75], v[48:49], s[20:21], -v[74:75]
	v_fma_f64 v[104:105], v[56:57], s[18:19], -v[70:71]
	v_add_f64 v[44:45], v[86:87], v[68:69]
	v_add_f64 v[46:47], v[90:91], v[88:89]
	;; [unrolled: 1-line block ×8, first 2 shown]
	v_add_f64 v[60:61], v[82:83], -v[100:101]
	v_add_f64 v[64:65], v[86:87], -v[68:69]
	;; [unrolled: 1-line block ×7, first 2 shown]
	v_mul_lo_u16_e32 v80, 10, v228
	v_add_f64 v[70:71], v[92:93], -v[102:103]
	v_add_f64 v[78:79], v[96:97], -v[104:105]
	v_lshlrev_b32_e32 v229, 4, v80
	v_add_f64 v[74:75], v[98:99], -v[74:75]
	s_barrier
	ds_write_b128 v229, v[40:43]
	ds_write_b128 v229, v[44:47] offset:16
	ds_write_b128 v229, v[48:51] offset:32
	;; [unrolled: 1-line block ×9, first 2 shown]
	s_waitcnt lgkmcnt(0)
	s_barrier
	ds_read_b128 v[84:87], v227
	ds_read_b128 v[80:83], v227 offset:2592
	ds_read_b128 v[96:99], v227 offset:17280
	;; [unrolled: 1-line block ×8, first 2 shown]
	v_cmp_gt_u16_e64 s[0:1], 54, v228
	s_and_saveexec_b64 s[2:3], s[0:1]
	s_cbranch_execz .LBB0_3
; %bb.2:
	ds_read_b128 v[72:75], v227 offset:7776
	ds_read_b128 v[112:115], v227 offset:16416
	;; [unrolled: 1-line block ×3, first 2 shown]
.LBB0_3:
	s_or_b64 exec, exec, s[2:3]
	s_movk_i32 s12, 0xcd
	v_mul_lo_u16_sdwa v40, v228, s12 dst_sel:DWORD dst_unused:UNUSED_PAD src0_sel:BYTE_0 src1_sel:DWORD
	v_lshrrev_b16_e32 v152, 11, v40
	v_mul_lo_u16_e32 v40, 10, v152
	v_sub_u16_e32 v40, v228, v40
	v_and_b32_e32 v153, 0xff, v40
	v_add_co_u32_e32 v202, vcc, 0xa2, v228
	v_lshlrev_b32_e32 v48, 5, v153
	s_mov_b32 s12, 0xcccd
	global_load_dwordx4 v[40:43], v48, s[14:15] offset:16
	global_load_dwordx4 v[44:47], v48, s[14:15]
	v_mul_u32_u24_sdwa v48, v202, s12 dst_sel:DWORD dst_unused:UNUSED_PAD src0_sel:WORD_0 src1_sel:DWORD
	v_lshrrev_b32_e32 v154, 19, v48
	v_mul_lo_u16_e32 v48, 10, v154
	v_sub_u16_e32 v155, v202, v48
	v_lshlrev_b16_e32 v48, 1, v155
	s_mov_b64 s[2:3], vcc
	v_add_co_u32_e32 v200, vcc, 0x144, v228
	v_lshlrev_b32_e32 v56, 4, v48
	global_load_dwordx4 v[48:51], v56, s[14:15] offset:16
	global_load_dwordx4 v[52:55], v56, s[14:15]
	v_mul_u32_u24_sdwa v56, v200, s12 dst_sel:DWORD dst_unused:UNUSED_PAD src0_sel:WORD_0 src1_sel:DWORD
	v_lshrrev_b32_e32 v156, 19, v56
	v_mul_lo_u16_e32 v56, 10, v156
	v_sub_u16_e32 v157, v200, v56
	v_lshlrev_b16_e32 v56, 1, v157
	s_mov_b64 s[4:5], vcc
	v_add_co_u32_e32 v205, vcc, 0x1e6, v228
	v_lshlrev_b32_e32 v64, 4, v56
	global_load_dwordx4 v[56:59], v64, s[14:15] offset:16
	global_load_dwordx4 v[60:63], v64, s[14:15]
	v_mul_u32_u24_sdwa v64, v205, s12 dst_sel:DWORD dst_unused:UNUSED_PAD src0_sel:WORD_0 src1_sel:DWORD
	v_lshrrev_b32_e32 v158, 19, v64
	v_mul_lo_u16_e32 v64, 10, v158
	v_sub_u16_e32 v159, v205, v64
	v_lshlrev_b16_e32 v64, 1, v159
	v_lshlrev_b32_e32 v64, 4, v64
	global_load_dwordx4 v[68:71], v64, s[14:15]
	s_nop 0
	global_load_dwordx4 v[64:67], v64, s[14:15] offset:16
	s_mov_b32 s18, 0xe8584caa
	s_mov_b32 s19, 0x3febb67a
	;; [unrolled: 1-line block ×4, first 2 shown]
	s_waitcnt vmcnt(0) lgkmcnt(0)
	s_barrier
	v_addc_co_u32_e64 v203, s[2:3], 0, 0, s[2:3]
	v_addc_co_u32_e64 v201, s[2:3], 0, 0, s[4:5]
	v_addc_co_u32_e64 v206, s[2:3], 0, 0, vcc
	v_mul_f64 v[124:125], v[98:99], v[42:43]
	v_mul_f64 v[120:121], v[110:111], v[46:47]
	;; [unrolled: 1-line block ×4, first 2 shown]
	v_fma_f64 v[96:97], v[96:97], v[40:41], -v[124:125]
	v_fma_f64 v[108:109], v[108:109], v[44:45], -v[120:121]
	v_mul_f64 v[134:135], v[88:89], v[50:51]
	v_mul_f64 v[130:131], v[104:105], v[54:55]
	;; [unrolled: 1-line block ×4, first 2 shown]
	v_fma_f64 v[110:111], v[110:111], v[44:45], v[122:123]
	v_fma_f64 v[98:99], v[98:99], v[40:41], v[126:127]
	;; [unrolled: 1-line block ×4, first 2 shown]
	v_mul_f64 v[140:141], v[94:95], v[58:59]
	v_mul_f64 v[136:137], v[102:103], v[62:63]
	;; [unrolled: 1-line block ×4, first 2 shown]
	v_fma_f64 v[104:105], v[104:105], v[52:53], -v[128:129]
	v_fma_f64 v[120:121], v[88:89], v[48:49], -v[132:133]
	v_add_f64 v[88:89], v[84:85], v[108:109]
	v_mul_f64 v[144:145], v[114:115], v[70:71]
	v_fma_f64 v[128:129], v[92:93], v[56:57], -v[140:141]
	v_fma_f64 v[124:125], v[100:101], v[60:61], -v[136:137]
	v_mul_f64 v[146:147], v[112:113], v[70:71]
	v_mul_f64 v[148:149], v[118:119], v[66:67]
	;; [unrolled: 1-line block ×3, first 2 shown]
	v_add_f64 v[92:93], v[108:109], v[96:97]
	v_add_f64 v[90:91], v[86:87], v[110:111]
	v_fma_f64 v[132:133], v[112:113], v[68:69], -v[144:145]
	v_add_f64 v[100:101], v[110:111], v[98:99]
	v_add_f64 v[112:113], v[106:107], -v[122:123]
	v_add_f64 v[134:135], v[82:83], v[106:107]
	v_add_f64 v[106:107], v[106:107], v[122:123]
	v_fma_f64 v[126:127], v[102:103], v[60:61], v[138:139]
	v_fma_f64 v[130:131], v[94:95], v[56:57], v[142:143]
	v_add_f64 v[94:95], v[110:111], -v[98:99]
	v_add_f64 v[102:103], v[108:109], -v[96:97]
	v_add_f64 v[108:109], v[80:81], v[104:105]
	v_add_f64 v[110:111], v[104:105], v[120:121]
	;; [unrolled: 1-line block ×3, first 2 shown]
	v_fma_f64 v[114:115], v[114:115], v[68:69], v[146:147]
	v_fma_f64 v[116:117], v[116:117], v[64:65], -v[148:149]
	v_fma_f64 v[118:119], v[118:119], v[64:65], v[150:151]
	v_add_f64 v[104:105], v[104:105], -v[120:121]
	v_add_f64 v[88:89], v[88:89], v[96:97]
	v_add_f64 v[90:91], v[90:91], v[98:99]
	v_fma_f64 v[96:97], v[92:93], -0.5, v[84:85]
	v_fma_f64 v[98:99], v[100:101], -0.5, v[86:87]
	;; [unrolled: 1-line block ×3, first 2 shown]
	v_add_f64 v[140:141], v[126:127], -v[130:131]
	v_add_f64 v[142:143], v[126:127], v[130:131]
	v_add_f64 v[84:85], v[108:109], v[120:121]
	v_fma_f64 v[108:109], v[110:111], -0.5, v[80:81]
	v_fma_f64 v[106:107], v[138:139], -0.5, v[76:77]
	v_add_f64 v[136:137], v[76:77], v[124:125]
	v_add_f64 v[144:145], v[132:133], v[116:117]
	v_fma_f64 v[92:93], v[94:95], s[18:19], v[96:97]
	v_fma_f64 v[96:97], v[94:95], s[20:21], v[96:97]
	;; [unrolled: 1-line block ×6, first 2 shown]
	v_add_f64 v[82:83], v[114:115], v[118:119]
	v_fma_f64 v[100:101], v[112:113], s[18:19], v[108:109]
	v_fma_f64 v[108:109], v[112:113], s[20:21], v[108:109]
	;; [unrolled: 1-line block ×4, first 2 shown]
	v_add_f64 v[104:105], v[78:79], v[126:127]
	v_fma_f64 v[106:107], v[142:143], -0.5, v[78:79]
	v_add_f64 v[120:121], v[124:125], -v[128:129]
	v_add_f64 v[86:87], v[134:135], v[122:123]
	v_add_f64 v[80:81], v[136:137], v[128:129]
	;; [unrolled: 1-line block ×3, first 2 shown]
	v_fma_f64 v[72:73], v[144:145], -0.5, v[72:73]
	v_add_f64 v[124:125], v[114:115], -v[118:119]
	v_add_f64 v[126:127], v[74:75], v[114:115]
	v_fma_f64 v[74:75], v[82:83], -0.5, v[74:75]
	v_add_f64 v[128:129], v[132:133], -v[116:117]
	v_add_f64 v[82:83], v[104:105], v[130:131]
	v_fma_f64 v[114:115], v[120:121], s[18:19], v[106:107]
	v_fma_f64 v[78:79], v[120:121], s[20:21], v[106:107]
	v_add_f64 v[104:105], v[122:123], v[116:117]
	v_fma_f64 v[120:121], v[124:125], s[18:19], v[72:73]
	v_fma_f64 v[124:125], v[124:125], s[20:21], v[72:73]
	;; [unrolled: 3-line block ×3, first 2 shown]
	v_mul_u32_u24_e32 v72, 30, v152
	v_add_lshl_u32 v72, v72, v153, 4
	ds_write_b128 v72, v[88:91]
	ds_write_b128 v72, v[92:95] offset:160
	buffer_store_dword v72, off, s[24:27], 0 offset:16 ; 4-byte Folded Spill
	ds_write_b128 v72, v[96:99] offset:320
	v_mad_legacy_u16 v72, v154, 30, v155
	v_lshlrev_b32_e32 v72, 4, v72
	ds_write_b128 v72, v[84:87]
	ds_write_b128 v72, v[100:103] offset:160
	buffer_store_dword v72, off, s[24:27], 0 offset:20 ; 4-byte Folded Spill
	ds_write_b128 v72, v[108:111] offset:320
	v_mad_legacy_u16 v72, v156, 30, v157
	v_lshlrev_b32_e32 v72, 4, v72
	ds_write_b128 v72, v[80:83]
	ds_write_b128 v72, v[76:79] offset:160
	buffer_store_dword v72, off, s[24:27], 0 offset:24 ; 4-byte Folded Spill
	ds_write_b128 v72, v[112:115] offset:320
	v_mad_legacy_u16 v72, v158, 30, v159
	buffer_store_dword v72, off, s[24:27], 0 offset:28 ; 4-byte Folded Spill
	s_and_saveexec_b64 s[2:3], s[0:1]
	s_cbranch_execz .LBB0_5
; %bb.4:
	buffer_load_dword v72, off, s[24:27], 0 offset:28 ; 4-byte Folded Reload
	s_waitcnt vmcnt(0)
	v_lshlrev_b32_e32 v72, 4, v72
	ds_write_b128 v72, v[104:107]
	ds_write_b128 v72, v[120:123] offset:160
	ds_write_b128 v72, v[124:127] offset:320
.LBB0_5:
	s_or_b64 exec, exec, s[2:3]
	s_waitcnt vmcnt(0) lgkmcnt(0)
	s_barrier
	ds_read_b128 v[112:115], v227
	ds_read_b128 v[108:111], v227 offset:2592
	ds_read_b128 v[136:139], v227 offset:17280
	;; [unrolled: 1-line block ×8, first 2 shown]
	s_and_saveexec_b64 s[2:3], s[0:1]
	s_cbranch_execz .LBB0_7
; %bb.6:
	ds_read_b128 v[104:107], v227 offset:7776
	ds_read_b128 v[120:123], v227 offset:16416
	;; [unrolled: 1-line block ×3, first 2 shown]
.LBB0_7:
	s_or_b64 exec, exec, s[2:3]
	s_movk_i32 s2, 0x89
	v_mul_lo_u16_sdwa v72, v228, s2 dst_sel:DWORD dst_unused:UNUSED_PAD src0_sel:BYTE_0 src1_sel:DWORD
	s_mov_b32 s2, 0x8889
	v_mul_u32_u24_sdwa v80, v202, s2 dst_sel:DWORD dst_unused:UNUSED_PAD src0_sel:WORD_0 src1_sel:DWORD
	v_lshrrev_b16_e32 v184, 12, v72
	v_lshrrev_b32_e32 v186, 20, v80
	v_mul_lo_u16_e32 v72, 30, v184
	v_mul_lo_u16_e32 v80, 30, v186
	v_mul_u32_u24_sdwa v88, v200, s2 dst_sel:DWORD dst_unused:UNUSED_PAD src0_sel:WORD_0 src1_sel:DWORD
	v_sub_u16_e32 v72, v228, v72
	v_sub_u16_e32 v187, v202, v80
	v_lshrrev_b32_e32 v188, 20, v88
	v_and_b32_e32 v185, 0xff, v72
	v_lshlrev_b16_e32 v80, 5, v187
	v_mul_lo_u16_e32 v88, 30, v188
	v_lshlrev_b32_e32 v76, 5, v185
	v_mov_b32_e32 v97, s15
	v_add_co_u32_e32 v84, vcc, s14, v80
	v_sub_u16_e32 v189, v200, v88
	global_load_dwordx4 v[72:75], v76, s[14:15] offset:336
	s_nop 0
	global_load_dwordx4 v[76:79], v76, s[14:15] offset:320
	v_addc_co_u32_e32 v85, vcc, 0, v97, vcc
	v_lshlrev_b16_e32 v88, 5, v189
	v_add_co_u32_e32 v92, vcc, s14, v88
	v_mul_u32_u24_sdwa v96, v205, s2 dst_sel:DWORD dst_unused:UNUSED_PAD src0_sel:WORD_0 src1_sel:DWORD
	v_addc_co_u32_e32 v93, vcc, 0, v97, vcc
	v_lshrrev_b32_e32 v96, 20, v96
	global_load_dwordx4 v[80:83], v[84:85], off offset:336
	s_nop 0
	global_load_dwordx4 v[84:87], v[84:85], off offset:320
	s_nop 0
	;; [unrolled: 2-line block ×3, first 2 shown]
	global_load_dwordx4 v[92:95], v[92:93], off offset:320
	s_mov_b32 s2, 0xe8584caa
	buffer_store_dword v96, off, s[24:27], 0 ; 4-byte Folded Spill
	v_mul_lo_u16_e32 v96, 30, v96
	v_sub_u16_e32 v96, v205, v96
	buffer_store_dword v96, off, s[24:27], 0 offset:4 ; 4-byte Folded Spill
	v_lshlrev_b16_e32 v96, 5, v96
	v_add_co_u32_e32 v96, vcc, s14, v96
	v_addc_co_u32_e32 v97, vcc, 0, v97, vcc
	global_load_dwordx4 v[100:103], v[96:97], off offset:320
	s_nop 0
	global_load_dwordx4 v[96:99], v[96:97], off offset:336
	s_mov_b32 s3, 0x3febb67a
	s_mov_b32 s5, 0xbfebb67a
	;; [unrolled: 1-line block ×3, first 2 shown]
	s_waitcnt vmcnt(0) lgkmcnt(0)
	s_barrier
	v_mul_f64 v[156:157], v[138:139], v[74:75]
	v_mul_f64 v[152:153], v[150:151], v[78:79]
	;; [unrolled: 1-line block ×4, first 2 shown]
	v_fma_f64 v[136:137], v[136:137], v[72:73], -v[156:157]
	v_fma_f64 v[148:149], v[148:149], v[76:77], -v[152:153]
	v_mul_f64 v[164:165], v[130:131], v[82:83]
	v_mul_f64 v[160:161], v[146:147], v[86:87]
	;; [unrolled: 1-line block ×8, first 2 shown]
	v_fma_f64 v[150:151], v[150:151], v[76:77], v[154:155]
	v_fma_f64 v[138:139], v[138:139], v[72:73], v[158:159]
	v_fma_f64 v[144:145], v[144:145], v[84:85], -v[160:161]
	v_fma_f64 v[146:147], v[146:147], v[84:85], v[162:163]
	v_mul_f64 v[176:177], v[122:123], v[102:103]
	v_mul_f64 v[178:179], v[120:121], v[102:103]
	;; [unrolled: 1-line block ×4, first 2 shown]
	v_fma_f64 v[128:129], v[128:129], v[80:81], -v[164:165]
	v_fma_f64 v[130:131], v[130:131], v[80:81], v[166:167]
	v_fma_f64 v[140:141], v[140:141], v[92:93], -v[168:169]
	v_fma_f64 v[142:143], v[142:143], v[92:93], v[170:171]
	;; [unrolled: 2-line block ×5, first 2 shown]
	v_add_f64 v[120:121], v[112:113], v[148:149]
	v_add_f64 v[122:123], v[148:149], v[136:137]
	v_add_f64 v[124:125], v[150:151], -v[138:139]
	v_add_f64 v[126:127], v[114:115], v[150:151]
	v_add_f64 v[150:151], v[150:151], v[138:139]
	;; [unrolled: 1-line block ×4, first 2 shown]
	v_add_f64 v[164:165], v[146:147], -v[130:131]
	v_add_f64 v[166:167], v[110:111], v[146:147]
	v_add_f64 v[146:147], v[146:147], v[130:131]
	v_add_f64 v[148:149], v[148:149], -v[136:137]
	v_add_f64 v[168:169], v[144:145], -v[128:129]
	v_add_f64 v[144:145], v[116:117], v[140:141]
	v_add_f64 v[170:171], v[140:141], v[132:133]
	v_add_f64 v[172:173], v[142:143], -v[134:135]
	v_add_f64 v[174:175], v[118:119], v[142:143]
	v_add_f64 v[142:143], v[142:143], v[134:135]
	;; [unrolled: 1-line block ×5, first 2 shown]
	v_fma_f64 v[136:137], v[122:123], -0.5, v[112:113]
	v_add_f64 v[122:123], v[126:127], v[138:139]
	v_fma_f64 v[126:127], v[150:151], -0.5, v[114:115]
	v_add_f64 v[112:113], v[156:157], v[128:129]
	;; [unrolled: 2-line block ×4, first 2 shown]
	v_fma_f64 v[138:139], v[170:171], -0.5, v[116:117]
	v_fma_f64 v[142:143], v[142:143], -0.5, v[118:119]
	v_fma_f64 v[110:111], v[148:149], s[4:5], v[126:127]
	v_fma_f64 v[118:119], v[148:149], s[2:3], v[126:127]
	v_add_f64 v[132:133], v[140:141], -v[132:133]
	v_add_f64 v[140:141], v[104:105], v[152:153]
	v_fma_f64 v[104:105], v[176:177], -0.5, v[104:105]
	v_add_f64 v[148:149], v[154:155], -v[162:163]
	v_add_f64 v[150:151], v[106:107], v[154:155]
	v_fma_f64 v[106:107], v[178:179], -0.5, v[106:107]
	v_add_f64 v[154:155], v[152:153], -v[160:161]
	v_fma_f64 v[116:117], v[124:125], s[4:5], v[136:137]
	v_fma_f64 v[108:109], v[124:125], s[2:3], v[136:137]
	;; [unrolled: 1-line block ×8, first 2 shown]
	v_add_f64 v[146:147], v[174:175], v[134:135]
	v_fma_f64 v[138:139], v[132:133], s[4:5], v[142:143]
	v_fma_f64 v[158:159], v[132:133], s[2:3], v[142:143]
	v_add_f64 v[160:161], v[140:141], v[160:161]
	v_fma_f64 v[164:165], v[148:149], s[2:3], v[104:105]
	v_fma_f64 v[152:153], v[148:149], s[4:5], v[104:105]
	;; [unrolled: 3-line block ×3, first 2 shown]
	v_mul_u32_u24_e32 v104, 0x5a, v184
	s_movk_i32 s4, 0x5a
	v_add_lshl_u32 v104, v104, v185, 4
	ds_write_b128 v104, v[120:123]
	ds_write_b128 v104, v[108:111] offset:480
	buffer_store_dword v104, off, s[24:27], 0 offset:32 ; 4-byte Folded Spill
	ds_write_b128 v104, v[116:119] offset:960
	v_mad_legacy_u16 v104, v186, s4, v187
	v_lshlrev_b32_e32 v104, 4, v104
	ds_write_b128 v104, v[112:115]
	ds_write_b128 v104, v[124:127] offset:480
	buffer_store_dword v104, off, s[24:27], 0 offset:36 ; 4-byte Folded Spill
	ds_write_b128 v104, v[128:131] offset:960
	v_mad_legacy_u16 v104, v188, s4, v189
	v_lshlrev_b32_e32 v240, 4, v104
	ds_write_b128 v240, v[144:147]
	ds_write_b128 v240, v[136:139] offset:480
	ds_write_b128 v240, v[156:159] offset:960
	s_and_saveexec_b64 s[2:3], s[0:1]
	s_cbranch_execz .LBB0_9
; %bb.8:
	buffer_load_dword v104, off, s[24:27], 0 ; 4-byte Folded Reload
	buffer_load_dword v105, off, s[24:27], 0 offset:4 ; 4-byte Folded Reload
	s_waitcnt vmcnt(0)
	v_mad_legacy_u16 v104, v104, s4, v105
	v_lshlrev_b32_e32 v104, 4, v104
	ds_write_b128 v104, v[160:163]
	ds_write_b128 v104, v[164:167] offset:480
	ds_write_b128 v104, v[152:155] offset:960
.LBB0_9:
	s_or_b64 exec, exec, s[2:3]
	s_waitcnt vmcnt(0) lgkmcnt(0)
	s_barrier
	ds_read_b128 v[148:151], v227
	ds_read_b128 v[140:143], v227 offset:4320
	ds_read_b128 v[132:135], v227 offset:8640
	;; [unrolled: 1-line block ×5, first 2 shown]
	s_movk_i32 s2, 0x6c
	v_cmp_gt_u16_e64 s[2:3], s2, v228
	s_and_saveexec_b64 s[4:5], s[2:3]
	s_cbranch_execz .LBB0_11
; %bb.10:
	ds_read_b128 v[144:147], v227 offset:2592
	ds_read_b128 v[136:139], v227 offset:6912
	;; [unrolled: 1-line block ×6, first 2 shown]
.LBB0_11:
	s_or_b64 exec, exec, s[4:5]
	s_movk_i32 s4, 0x5a
	v_add_u32_e32 v104, 0xffffffa6, v228
	v_cmp_gt_u16_e32 vcc, s4, v228
	v_cndmask_b32_e32 v170, v104, v228, vcc
	v_mul_i32_i24_e32 v105, 0x50, v170
	v_mul_hi_i32_i24_e32 v104, 0x50, v170
	v_add_co_u32_e32 v168, vcc, s14, v105
	v_mov_b32_e32 v192, s15
	v_addc_co_u32_e32 v169, vcc, v192, v104, vcc
	global_load_dwordx4 v[104:107], v[168:169], off offset:1328
	global_load_dwordx4 v[108:111], v[168:169], off offset:1312
	;; [unrolled: 1-line block ×4, first 2 shown]
	s_movk_i32 s4, 0x2d83
	s_mov_b32 s5, 0xbfebb67a
	s_movk_i32 s12, 0x21c
	s_waitcnt vmcnt(0) lgkmcnt(4)
	v_mul_f64 v[171:172], v[142:143], v[118:119]
	v_fma_f64 v[171:172], v[140:141], v[116:117], -v[171:172]
	v_mul_f64 v[140:141], v[140:141], v[118:119]
	v_fma_f64 v[173:174], v[142:143], v[116:117], v[140:141]
	s_waitcnt lgkmcnt(3)
	v_mul_f64 v[140:141], v[134:135], v[114:115]
	v_fma_f64 v[175:176], v[132:133], v[112:113], -v[140:141]
	v_mul_f64 v[132:133], v[132:133], v[114:115]
	v_fma_f64 v[177:178], v[134:135], v[112:113], v[132:133]
	s_waitcnt lgkmcnt(2)
	;; [unrolled: 5-line block ×3, first 2 shown]
	v_mul_f64 v[128:129], v[122:123], v[106:107]
	v_fma_f64 v[183:184], v[120:121], v[104:105], -v[128:129]
	v_mul_f64 v[120:121], v[120:121], v[106:107]
	v_fma_f64 v[185:186], v[122:123], v[104:105], v[120:121]
	global_load_dwordx4 v[120:123], v[168:169], off offset:1344
	s_waitcnt vmcnt(0) lgkmcnt(0)
	v_mul_f64 v[128:129], v[126:127], v[122:123]
	v_fma_f64 v[187:188], v[124:125], v[120:121], -v[128:129]
	v_mul_f64 v[124:125], v[124:125], v[122:123]
	v_fma_f64 v[189:190], v[126:127], v[120:121], v[124:125]
	v_mul_u32_u24_sdwa v124, v202, s4 dst_sel:DWORD dst_unused:UNUSED_PAD src0_sel:WORD_0 src1_sel:DWORD
	v_lshrrev_b32_e32 v124, 20, v124
	buffer_store_dword v124, off, s[24:27], 0 offset:8 ; 4-byte Folded Spill
	v_mul_lo_u16_e32 v124, 0x5a, v124
	v_sub_u16_e32 v124, v202, v124
	buffer_store_dword v124, off, s[24:27], 0 offset:12 ; 4-byte Folded Spill
	v_mul_lo_u16_e32 v124, 0x50, v124
	v_add_co_u32_e32 v191, vcc, s14, v124
	v_addc_co_u32_e32 v192, vcc, 0, v192, vcc
	global_load_dwordx4 v[124:127], v[191:192], off offset:1328
	global_load_dwordx4 v[128:131], v[191:192], off offset:1312
	;; [unrolled: 1-line block ×4, first 2 shown]
	s_mov_b32 s4, s18
	s_waitcnt vmcnt(0)
	v_mul_f64 v[168:169], v[138:139], v[142:143]
	v_fma_f64 v[193:194], v[136:137], v[140:141], -v[168:169]
	v_mul_f64 v[136:137], v[136:137], v[142:143]
	v_fma_f64 v[168:169], v[138:139], v[140:141], v[136:137]
	v_mul_f64 v[136:137], v[158:159], v[134:135]
	v_fma_f64 v[195:196], v[156:157], v[132:133], -v[136:137]
	v_mul_f64 v[136:137], v[156:157], v[134:135]
	v_fma_f64 v[156:157], v[158:159], v[132:133], v[136:137]
	;; [unrolled: 4-line block ×4, first 2 shown]
	global_load_dwordx4 v[136:139], v[191:192], off offset:1344
	s_waitcnt vmcnt(0)
	s_barrier
	v_mul_f64 v[164:165], v[154:155], v[138:139]
	v_fma_f64 v[164:165], v[152:153], v[136:137], -v[164:165]
	v_mul_f64 v[152:153], v[152:153], v[138:139]
	v_fma_f64 v[166:167], v[154:155], v[136:137], v[152:153]
	v_add_f64 v[154:155], v[175:176], v[183:184]
	v_add_f64 v[152:153], v[148:149], v[175:176]
	v_add_f64 v[175:176], v[175:176], -v[183:184]
	v_fma_f64 v[148:149], v[154:155], -0.5, v[148:149]
	v_add_f64 v[154:155], v[177:178], -v[185:186]
	v_add_f64 v[152:153], v[152:153], v[183:184]
	v_fma_f64 v[191:192], v[154:155], s[18:19], v[148:149]
	v_fma_f64 v[148:149], v[154:155], s[4:5], v[148:149]
	v_add_f64 v[154:155], v[150:151], v[177:178]
	v_add_f64 v[177:178], v[177:178], v[185:186]
	;; [unrolled: 1-line block ×3, first 2 shown]
	v_fma_f64 v[150:151], v[177:178], -0.5, v[150:151]
	v_fma_f64 v[183:184], v[175:176], s[4:5], v[150:151]
	v_fma_f64 v[150:151], v[175:176], s[18:19], v[150:151]
	v_add_f64 v[175:176], v[171:172], v[179:180]
	v_add_f64 v[185:186], v[175:176], v[187:188]
	;; [unrolled: 1-line block ×3, first 2 shown]
	v_fma_f64 v[171:172], v[175:176], -0.5, v[171:172]
	v_add_f64 v[175:176], v[181:182], -v[189:190]
	v_fma_f64 v[177:178], v[175:176], s[18:19], v[171:172]
	v_fma_f64 v[207:208], v[175:176], s[4:5], v[171:172]
	v_add_f64 v[171:172], v[173:174], v[181:182]
	v_add_f64 v[209:210], v[171:172], v[189:190]
	;; [unrolled: 1-line block ×3, first 2 shown]
	v_fma_f64 v[171:172], v[171:172], -0.5, v[173:174]
	v_add_f64 v[173:174], v[179:180], -v[187:188]
	v_fma_f64 v[181:182], v[173:174], s[4:5], v[171:172]
	v_fma_f64 v[187:188], v[173:174], s[18:19], v[171:172]
	v_add_f64 v[171:172], v[152:153], v[185:186]
	v_mul_f64 v[173:174], v[181:182], s[18:19]
	v_fma_f64 v[211:212], v[177:178], 0.5, v[173:174]
	v_mul_f64 v[177:178], v[177:178], s[4:5]
	v_mul_f64 v[173:174], v[207:208], -0.5
	v_add_f64 v[175:176], v[191:192], v[211:212]
	v_fma_f64 v[215:216], v[181:182], 0.5, v[177:178]
	v_mul_f64 v[181:182], v[187:188], -0.5
	v_fma_f64 v[213:214], v[187:188], s[18:19], v[173:174]
	v_add_f64 v[188:189], v[152:153], -v[185:186]
	v_add_f64 v[152:153], v[156:157], -v[162:163]
	v_add_f64 v[173:174], v[154:155], v[209:210]
	v_add_f64 v[177:178], v[183:184], v[215:216]
	v_fma_f64 v[217:218], v[207:208], s[4:5], v[181:182]
	v_add_f64 v[179:180], v[148:149], v[213:214]
	v_add_f64 v[207:208], v[191:192], -v[211:212]
	v_add_f64 v[211:212], v[148:149], -v[213:214]
	v_add_f64 v[148:149], v[144:145], v[195:196]
	v_add_f64 v[190:191], v[154:155], -v[209:210]
	v_add_f64 v[154:155], v[156:157], v[162:163]
	;; [unrolled: 2-line block ×4, first 2 shown]
	v_add_f64 v[148:149], v[148:149], v[158:159]
	v_fma_f64 v[150:151], v[150:151], -0.5, v[144:145]
	v_fma_f64 v[144:145], v[152:153], s[18:19], v[150:151]
	v_fma_f64 v[150:151], v[152:153], s[4:5], v[150:151]
	v_add_f64 v[152:153], v[146:147], v[156:157]
	v_add_f64 v[156:157], v[195:196], -v[158:159]
	v_add_f64 v[158:159], v[197:198], v[164:165]
	v_fma_f64 v[146:147], v[154:155], -0.5, v[146:147]
	v_add_f64 v[152:153], v[152:153], v[162:163]
	v_add_f64 v[162:163], v[160:161], -v[166:167]
	v_fma_f64 v[158:159], v[158:159], -0.5, v[193:194]
	v_fma_f64 v[154:155], v[156:157], s[4:5], v[146:147]
	v_fma_f64 v[156:157], v[156:157], s[18:19], v[146:147]
	v_add_f64 v[146:147], v[193:194], v[197:198]
	v_fma_f64 v[183:184], v[162:163], s[18:19], v[158:159]
	v_fma_f64 v[185:186], v[162:163], s[4:5], v[158:159]
	v_add_f64 v[158:159], v[168:169], v[160:161]
	v_add_f64 v[160:161], v[160:161], v[166:167]
	v_add_f64 v[162:163], v[197:198], -v[164:165]
	v_add_f64 v[146:147], v[146:147], v[164:165]
	v_add_f64 v[158:159], v[158:159], v[166:167]
	v_fma_f64 v[160:161], v[160:161], -0.5, v[168:169]
	v_mul_f64 v[168:169], v[183:184], s[4:5]
	v_fma_f64 v[164:165], v[162:163], s[4:5], v[160:161]
	v_fma_f64 v[166:167], v[162:163], s[18:19], v[160:161]
	v_mul_f64 v[162:163], v[185:186], -0.5
	v_mul_f64 v[160:161], v[164:165], s[18:19]
	v_fma_f64 v[164:165], v[164:165], 0.5, v[168:169]
	v_fma_f64 v[162:163], v[166:167], s[18:19], v[162:163]
	v_mul_f64 v[166:167], v[166:167], -0.5
	v_mov_b32_e32 v168, 0x21c
	v_fma_f64 v[160:161], v[183:184], 0.5, v[160:161]
	v_add_f64 v[194:195], v[154:155], -v[164:165]
	v_add_f64 v[196:197], v[150:151], -v[162:163]
	v_fma_f64 v[166:167], v[185:186], s[4:5], v[166:167]
	v_add_f64 v[184:185], v[148:149], -v[146:147]
	v_add_f64 v[186:187], v[152:153], -v[158:159]
	s_movk_i32 s4, 0x59
	v_cmp_lt_u16_e32 vcc, s4, v228
	v_add_f64 v[192:193], v[144:145], -v[160:161]
	v_cndmask_b32_e32 v168, 0, v168, vcc
	v_add_lshl_u32 v241, v170, v168, 4
	v_add_f64 v[198:199], v[156:157], -v[166:167]
	ds_write_b128 v241, v[171:174]
	ds_write_b128 v241, v[175:178] offset:1440
	ds_write_b128 v241, v[179:182] offset:2880
	;; [unrolled: 1-line block ×5, first 2 shown]
	s_and_saveexec_b64 s[4:5], s[2:3]
	s_cbranch_execz .LBB0_13
; %bb.12:
	v_add_f64 v[156:157], v[156:157], v[166:167]
	v_add_f64 v[166:167], v[154:155], v[164:165]
	;; [unrolled: 1-line block ×3, first 2 shown]
	buffer_load_dword v144, off, s[24:27], 0 offset:8 ; 4-byte Folded Reload
	buffer_load_dword v145, off, s[24:27], 0 offset:12 ; 4-byte Folded Reload
	v_add_f64 v[170:171], v[152:153], v[158:159]
	v_add_f64 v[168:169], v[148:149], v[146:147]
	;; [unrolled: 1-line block ×3, first 2 shown]
	s_waitcnt vmcnt(0)
	v_mad_legacy_u16 v144, v144, s12, v145
	v_lshlrev_b32_e32 v144, 4, v144
	ds_write_b128 v144, v[168:171]
	ds_write_b128 v144, v[164:167] offset:1440
	ds_write_b128 v144, v[154:157] offset:2880
	;; [unrolled: 1-line block ×5, first 2 shown]
.LBB0_13:
	s_or_b64 exec, exec, s[4:5]
	s_waitcnt lgkmcnt(0)
	s_barrier
	ds_read_b128 v[188:191], v227
	ds_read_b128 v[180:183], v227 offset:2592
	ds_read_b128 v[160:163], v227 offset:17280
	;; [unrolled: 1-line block ×8, first 2 shown]
	s_and_saveexec_b64 s[4:5], s[0:1]
	s_cbranch_execz .LBB0_15
; %bb.14:
	ds_read_b128 v[184:187], v227 offset:7776
	ds_read_b128 v[192:195], v227 offset:16416
	;; [unrolled: 1-line block ×3, first 2 shown]
.LBB0_15:
	s_or_b64 exec, exec, s[4:5]
	v_lshlrev_b32_e32 v144, 5, v228
	v_add_co_u32_e32 v144, vcc, s14, v144
	v_mov_b32_e32 v217, s15
	v_addc_co_u32_e32 v145, vcc, 0, v217, vcc
	s_movk_i32 s5, 0x2120
	v_add_co_u32_e32 v148, vcc, s5, v144
	v_addc_co_u32_e32 v149, vcc, 0, v145, vcc
	s_movk_i32 s4, 0x2000
	v_add_co_u32_e32 v144, vcc, s4, v144
	v_addc_co_u32_e32 v145, vcc, 0, v145, vcc
	global_load_dwordx4 v[144:147], v[144:145], off offset:288
	s_nop 0
	global_load_dwordx4 v[148:151], v[148:149], off offset:16
	s_movk_i32 s12, 0xffca
	s_mov_b32 s15, 0xbfebb67a
	s_waitcnt vmcnt(1) lgkmcnt(4)
	v_mul_f64 v[207:208], v[166:167], v[146:147]
	v_fma_f64 v[207:208], v[164:165], v[144:145], -v[207:208]
	v_mul_f64 v[164:165], v[164:165], v[146:147]
	v_fma_f64 v[209:210], v[166:167], v[144:145], v[164:165]
	s_waitcnt vmcnt(0)
	v_mul_f64 v[164:165], v[162:163], v[150:151]
	v_fma_f64 v[211:212], v[160:161], v[148:149], -v[164:165]
	v_mul_f64 v[160:161], v[160:161], v[150:151]
	v_fma_f64 v[213:214], v[162:163], v[148:149], v[160:161]
	v_lshlrev_b64 v[160:161], 5, v[202:203]
	v_add_co_u32_e32 v160, vcc, s14, v160
	v_addc_co_u32_e32 v161, vcc, v217, v161, vcc
	v_add_co_u32_e32 v164, vcc, s5, v160
	v_addc_co_u32_e32 v165, vcc, 0, v161, vcc
	;; [unrolled: 2-line block ×3, first 2 shown]
	global_load_dwordx4 v[160:163], v[160:161], off offset:288
	s_nop 0
	global_load_dwordx4 v[164:167], v[164:165], off offset:16
	s_waitcnt vmcnt(1) lgkmcnt(2)
	v_mul_f64 v[202:203], v[174:175], v[162:163]
	v_fma_f64 v[215:216], v[172:173], v[160:161], -v[202:203]
	v_mul_f64 v[172:173], v[172:173], v[162:163]
	v_fma_f64 v[219:220], v[174:175], v[160:161], v[172:173]
	s_waitcnt vmcnt(0)
	v_mul_f64 v[172:173], v[170:171], v[166:167]
	v_fma_f64 v[221:222], v[168:169], v[164:165], -v[172:173]
	v_mul_f64 v[168:169], v[168:169], v[166:167]
	v_fma_f64 v[225:226], v[170:171], v[164:165], v[168:169]
	v_lshlrev_b64 v[168:169], 5, v[200:201]
	v_add_co_u32_e32 v170, vcc, s14, v168
	v_addc_co_u32_e32 v171, vcc, v217, v169, vcc
	v_add_co_u32_e32 v168, vcc, s5, v170
	v_addc_co_u32_e32 v169, vcc, 0, v171, vcc
	;; [unrolled: 2-line block ×3, first 2 shown]
	global_load_dwordx4 v[172:175], v[170:171], off offset:288
	s_nop 0
	global_load_dwordx4 v[168:171], v[168:169], off offset:16
	s_waitcnt vmcnt(1) lgkmcnt(1)
	v_mul_f64 v[200:201], v[158:159], v[174:175]
	v_fma_f64 v[230:231], v[156:157], v[172:173], -v[200:201]
	v_mul_f64 v[156:157], v[156:157], v[174:175]
	v_fma_f64 v[232:233], v[158:159], v[172:173], v[156:157]
	s_waitcnt vmcnt(0) lgkmcnt(0)
	v_mul_f64 v[156:157], v[154:155], v[170:171]
	v_fma_f64 v[248:249], v[152:153], v[168:169], -v[156:157]
	v_mul_f64 v[152:153], v[152:153], v[170:171]
	v_fma_f64 v[252:253], v[154:155], v[168:169], v[152:153]
	v_add_co_u32_e32 v152, vcc, s12, v228
	v_addc_co_u32_e64 v153, s[18:19], 0, -1, vcc
	v_cndmask_b32_e64 v153, v153, v206, s[0:1]
	v_cndmask_b32_e64 v152, v152, v205, s[0:1]
	v_lshlrev_b64 v[152:153], 5, v[152:153]
	v_add_f64 v[205:206], v[209:210], -v[213:214]
	v_add_co_u32_e32 v152, vcc, s14, v152
	v_addc_co_u32_e32 v153, vcc, v217, v153, vcc
	v_add_co_u32_e32 v156, vcc, s5, v152
	v_addc_co_u32_e32 v157, vcc, 0, v153, vcc
	;; [unrolled: 2-line block ×3, first 2 shown]
	global_load_dwordx4 v[152:155], v[152:153], off offset:288
	s_nop 0
	global_load_dwordx4 v[156:159], v[156:157], off offset:16
	s_mov_b32 s4, 0xe8584caa
	s_mov_b32 s5, 0x3febb67a
	s_mov_b32 s14, s4
	s_waitcnt vmcnt(1)
	v_mul_f64 v[200:201], v[194:195], v[154:155]
	v_fma_f64 v[200:201], v[192:193], v[152:153], -v[200:201]
	v_mul_f64 v[192:193], v[192:193], v[154:155]
	v_fma_f64 v[202:203], v[194:195], v[152:153], v[192:193]
	s_waitcnt vmcnt(0)
	v_mul_f64 v[194:195], v[196:197], v[158:159]
	v_mul_f64 v[192:193], v[198:199], v[158:159]
	v_fma_f64 v[194:195], v[198:199], v[156:157], v[194:195]
	v_add_f64 v[198:199], v[207:208], v[211:212]
	v_fma_f64 v[192:193], v[196:197], v[156:157], -v[192:193]
	v_add_f64 v[196:197], v[188:189], v[207:208]
	v_add_f64 v[207:208], v[207:208], -v[211:212]
	v_fma_f64 v[198:199], v[198:199], -0.5, v[188:189]
	v_add_f64 v[196:197], v[196:197], v[211:212]
	v_add_f64 v[211:212], v[215:216], v[221:222]
	v_fma_f64 v[188:189], v[205:206], s[4:5], v[198:199]
	v_fma_f64 v[205:206], v[205:206], s[14:15], v[198:199]
	v_add_f64 v[198:199], v[190:191], v[209:210]
	v_add_f64 v[209:210], v[209:210], v[213:214]
	;; [unrolled: 1-line block ×3, first 2 shown]
	v_fma_f64 v[209:210], v[209:210], -0.5, v[190:191]
	v_fma_f64 v[190:191], v[207:208], s[14:15], v[209:210]
	v_fma_f64 v[207:208], v[207:208], s[4:5], v[209:210]
	v_add_f64 v[209:210], v[180:181], v[215:216]
	v_fma_f64 v[180:181], v[211:212], -0.5, v[180:181]
	v_add_f64 v[211:212], v[219:220], -v[225:226]
	v_add_f64 v[209:210], v[209:210], v[221:222]
	v_fma_f64 v[213:214], v[211:212], s[4:5], v[180:181]
	v_fma_f64 v[217:218], v[211:212], s[14:15], v[180:181]
	v_add_f64 v[180:181], v[182:183], v[219:220]
	v_add_f64 v[211:212], v[180:181], v[225:226]
	;; [unrolled: 1-line block ×3, first 2 shown]
	v_fma_f64 v[180:181], v[180:181], -0.5, v[182:183]
	v_add_f64 v[182:183], v[215:216], -v[221:222]
	v_add_f64 v[221:222], v[200:201], -v[192:193]
	v_fma_f64 v[215:216], v[182:183], s[14:15], v[180:181]
	v_fma_f64 v[219:220], v[182:183], s[4:5], v[180:181]
	v_add_f64 v[180:181], v[176:177], v[230:231]
	v_add_f64 v[242:243], v[180:181], v[248:249]
	;; [unrolled: 1-line block ×3, first 2 shown]
	v_fma_f64 v[176:177], v[180:181], -0.5, v[176:177]
	v_add_f64 v[180:181], v[232:233], -v[252:253]
	v_fma_f64 v[246:247], v[180:181], s[4:5], v[176:177]
	v_fma_f64 v[250:251], v[180:181], s[14:15], v[176:177]
	v_add_f64 v[176:177], v[178:179], v[232:233]
	v_add_f64 v[180:181], v[202:203], -v[194:195]
	v_add_f64 v[244:245], v[176:177], v[252:253]
	v_add_f64 v[176:177], v[232:233], v[252:253]
	v_fma_f64 v[176:177], v[176:177], -0.5, v[178:179]
	v_add_f64 v[178:179], v[230:231], -v[248:249]
	v_fma_f64 v[248:249], v[178:179], s[14:15], v[176:177]
	v_fma_f64 v[252:253], v[178:179], s[4:5], v[176:177]
	v_add_f64 v[176:177], v[200:201], v[192:193]
	ds_write_b128 v227, v[196:199]
	ds_write_b128 v227, v[188:191] offset:8640
	ds_write_b128 v227, v[205:208] offset:17280
	;; [unrolled: 1-line block ×8, first 2 shown]
	v_fma_f64 v[178:179], v[176:177], -0.5, v[184:185]
	v_fma_f64 v[176:177], v[180:181], s[4:5], v[178:179]
	v_fma_f64 v[180:181], v[180:181], s[14:15], v[178:179]
	v_add_f64 v[178:179], v[202:203], v[194:195]
	v_fma_f64 v[182:183], v[178:179], -0.5, v[186:187]
	v_fma_f64 v[178:179], v[221:222], s[14:15], v[182:183]
	v_fma_f64 v[182:183], v[221:222], s[4:5], v[182:183]
	s_and_saveexec_b64 s[4:5], s[0:1]
	s_cbranch_execz .LBB0_17
; %bb.16:
	v_add_f64 v[186:187], v[186:187], v[202:203]
	v_add_f64 v[184:185], v[184:185], v[200:201]
	;; [unrolled: 1-line block ×4, first 2 shown]
	ds_write_b128 v227, v[176:179] offset:16416
	ds_write_b128 v227, v[184:187] offset:7776
	;; [unrolled: 1-line block ×3, first 2 shown]
.LBB0_17:
	s_or_b64 exec, exec, s[4:5]
	v_mov_b32_e32 v184, s13
	v_addc_co_u32_e64 v198, vcc, 0, v184, s[6:7]
	s_movk_i32 s4, 0x6540
	v_add_co_u32_e32 v196, vcc, s4, v204
	v_addc_co_u32_e32 v197, vcc, 0, v198, vcc
	s_movk_i32 s4, 0x6000
	v_add_co_u32_e32 v188, vcc, s4, v204
	v_addc_co_u32_e32 v189, vcc, 0, v198, vcc
	s_waitcnt lgkmcnt(0)
	s_barrier
	global_load_dwordx4 v[188:191], v[188:189], off offset:1344
	ds_read_b128 v[184:187], v227
	s_movk_i32 s4, 0x7000
	s_mov_b32 s18, 0x134454ff
	s_mov_b32 s19, 0xbfee6f0e
	;; [unrolled: 1-line block ×11, first 2 shown]
	s_waitcnt vmcnt(0) lgkmcnt(0)
	v_mul_f64 v[192:193], v[186:187], v[190:191]
	v_fma_f64 v[192:193], v[184:185], v[188:189], -v[192:193]
	v_mul_f64 v[184:185], v[184:185], v[190:191]
	v_fma_f64 v[194:195], v[186:187], v[188:189], v[184:185]
	global_load_dwordx4 v[188:191], v[196:197], off offset:2592
	ds_read_b128 v[184:187], v227 offset:2592
	ds_write_b128 v227, v[192:195]
	s_waitcnt vmcnt(0) lgkmcnt(1)
	v_mul_f64 v[192:193], v[186:187], v[190:191]
	v_fma_f64 v[192:193], v[184:185], v[188:189], -v[192:193]
	v_mul_f64 v[184:185], v[184:185], v[190:191]
	v_fma_f64 v[194:195], v[186:187], v[188:189], v[184:185]
	v_add_co_u32_e32 v188, vcc, s4, v204
	v_addc_co_u32_e32 v189, vcc, 0, v198, vcc
	global_load_dwordx4 v[188:191], v[188:189], off offset:2432
	ds_read_b128 v[184:187], v227 offset:5184
	s_mov_b32 s4, 0x8000
	ds_write_b128 v227, v[192:195] offset:2592
	v_add_co_u32_e32 v196, vcc, s4, v204
	v_addc_co_u32_e32 v197, vcc, 0, v198, vcc
	s_mov_b32 s4, 0x9000
	s_waitcnt vmcnt(0) lgkmcnt(1)
	v_mul_f64 v[192:193], v[186:187], v[190:191]
	v_fma_f64 v[192:193], v[184:185], v[188:189], -v[192:193]
	v_mul_f64 v[184:185], v[184:185], v[190:191]
	v_fma_f64 v[194:195], v[186:187], v[188:189], v[184:185]
	global_load_dwordx4 v[188:191], v[196:197], off offset:928
	ds_read_b128 v[184:187], v227 offset:7776
	ds_write_b128 v227, v[192:195] offset:5184
	s_waitcnt vmcnt(0) lgkmcnt(1)
	v_mul_f64 v[192:193], v[186:187], v[190:191]
	v_fma_f64 v[192:193], v[184:185], v[188:189], -v[192:193]
	v_mul_f64 v[184:185], v[184:185], v[190:191]
	v_fma_f64 v[194:195], v[186:187], v[188:189], v[184:185]
	global_load_dwordx4 v[188:191], v[196:197], off offset:3520
	ds_read_b128 v[184:187], v227 offset:10368
	ds_write_b128 v227, v[192:195] offset:7776
	s_waitcnt vmcnt(0) lgkmcnt(1)
	v_mul_f64 v[192:193], v[186:187], v[190:191]
	v_fma_f64 v[192:193], v[184:185], v[188:189], -v[192:193]
	v_mul_f64 v[184:185], v[184:185], v[190:191]
	v_fma_f64 v[194:195], v[186:187], v[188:189], v[184:185]
	v_add_co_u32_e32 v188, vcc, s4, v204
	v_addc_co_u32_e32 v189, vcc, 0, v198, vcc
	global_load_dwordx4 v[188:191], v[188:189], off offset:2016
	ds_read_b128 v[184:187], v227 offset:12960
	s_mov_b32 s4, 0xa000
	ds_write_b128 v227, v[192:195] offset:10368
	v_add_co_u32_e32 v196, vcc, s4, v204
	v_addc_co_u32_e32 v197, vcc, 0, v198, vcc
	s_mov_b32 s4, 0xb000
	s_waitcnt vmcnt(0) lgkmcnt(1)
	v_mul_f64 v[192:193], v[186:187], v[190:191]
	v_fma_f64 v[192:193], v[184:185], v[188:189], -v[192:193]
	v_mul_f64 v[184:185], v[184:185], v[190:191]
	v_fma_f64 v[194:195], v[186:187], v[188:189], v[184:185]
	global_load_dwordx4 v[188:191], v[196:197], off offset:512
	ds_read_b128 v[184:187], v227 offset:15552
	ds_write_b128 v227, v[192:195] offset:12960
	s_waitcnt vmcnt(0) lgkmcnt(1)
	v_mul_f64 v[192:193], v[186:187], v[190:191]
	v_fma_f64 v[192:193], v[184:185], v[188:189], -v[192:193]
	v_mul_f64 v[184:185], v[184:185], v[190:191]
	v_fma_f64 v[194:195], v[186:187], v[188:189], v[184:185]
	global_load_dwordx4 v[188:191], v[196:197], off offset:3104
	ds_read_b128 v[184:187], v227 offset:18144
	ds_write_b128 v227, v[192:195] offset:15552
	s_waitcnt vmcnt(0) lgkmcnt(1)
	v_mul_f64 v[192:193], v[186:187], v[190:191]
	v_fma_f64 v[192:193], v[184:185], v[188:189], -v[192:193]
	v_mul_f64 v[184:185], v[184:185], v[190:191]
	v_fma_f64 v[194:195], v[186:187], v[188:189], v[184:185]
	v_add_co_u32_e32 v188, vcc, s4, v204
	v_addc_co_u32_e32 v189, vcc, 0, v198, vcc
	global_load_dwordx4 v[188:191], v[188:189], off offset:1600
	ds_read_b128 v[184:187], v227 offset:20736
	s_mov_b32 s4, 0xc000
	ds_write_b128 v227, v[192:195] offset:18144
	s_waitcnt vmcnt(0) lgkmcnt(1)
	v_mul_f64 v[192:193], v[186:187], v[190:191]
	v_fma_f64 v[192:193], v[184:185], v[188:189], -v[192:193]
	v_mul_f64 v[184:185], v[184:185], v[190:191]
	v_fma_f64 v[194:195], v[186:187], v[188:189], v[184:185]
	v_add_co_u32_e32 v188, vcc, s4, v204
	v_addc_co_u32_e32 v189, vcc, 0, v198, vcc
	global_load_dwordx4 v[188:191], v[188:189], off offset:96
	ds_read_b128 v[184:187], v227 offset:23328
	s_mov_b32 s4, s14
	ds_write_b128 v227, v[192:195] offset:20736
	s_waitcnt vmcnt(0) lgkmcnt(1)
	v_mul_f64 v[192:193], v[186:187], v[190:191]
	v_fma_f64 v[192:193], v[184:185], v[188:189], -v[192:193]
	v_mul_f64 v[184:185], v[184:185], v[190:191]
	v_fma_f64 v[194:195], v[186:187], v[188:189], v[184:185]
	ds_write_b128 v227, v[192:195] offset:23328
	s_waitcnt lgkmcnt(0)
	s_barrier
	ds_read_b128 v[218:221], v227
	ds_read_b128 v[188:191], v227 offset:2592
	ds_read_b128 v[242:245], v227 offset:5184
	;; [unrolled: 1-line block ×9, first 2 shown]
	s_waitcnt lgkmcnt(5)
	v_add_f64 v[212:213], v[242:243], -v[246:247]
	s_waitcnt lgkmcnt(3)
	v_add_f64 v[206:207], v[246:247], v[250:251]
	v_add_f64 v[214:215], v[248:249], -v[252:253]
	s_waitcnt lgkmcnt(1)
	v_add_f64 v[210:211], v[244:245], -v[232:233]
	v_add_f64 v[216:217], v[230:231], -v[250:251]
	v_add_f64 v[204:205], v[218:219], v[242:243]
	v_add_f64 v[222:223], v[250:251], -v[230:231]
	v_add_f64 v[225:226], v[246:247], -v[250:251]
	s_waitcnt lgkmcnt(0)
	v_fma_f64 v[206:207], v[206:207], -0.5, v[218:219]
	s_barrier
	v_add_f64 v[212:213], v[212:213], v[216:217]
	v_add_f64 v[204:205], v[204:205], v[246:247]
	v_fma_f64 v[208:209], v[210:211], s[18:19], v[206:207]
	v_fma_f64 v[206:207], v[210:211], s[6:7], v[206:207]
	v_add_f64 v[204:205], v[204:205], v[250:251]
	v_add_f64 v[250:251], v[196:197], -v[200:201]
	v_fma_f64 v[208:209], v[214:215], s[14:15], v[208:209]
	v_fma_f64 v[206:207], v[214:215], s[4:5], v[206:207]
	v_add_f64 v[204:205], v[204:205], v[230:231]
	v_fma_f64 v[208:209], v[212:213], s[12:13], v[208:209]
	v_fma_f64 v[206:207], v[212:213], s[12:13], v[206:207]
	v_add_f64 v[212:213], v[242:243], v[230:231]
	v_fma_f64 v[216:217], v[212:213], -0.5, v[218:219]
	v_add_f64 v[218:219], v[246:247], -v[242:243]
	v_add_f64 v[246:247], v[184:185], -v[192:193]
	v_fma_f64 v[212:213], v[214:215], s[6:7], v[216:217]
	v_fma_f64 v[214:215], v[214:215], s[18:19], v[216:217]
	v_add_f64 v[218:219], v[218:219], v[222:223]
	v_add_f64 v[216:217], v[248:249], v[252:253]
	v_add_f64 v[222:223], v[242:243], -v[230:231]
	v_add_f64 v[230:231], v[244:245], -v[248:249]
	v_add_f64 v[242:243], v[232:233], -v[252:253]
	v_fma_f64 v[212:213], v[210:211], s[14:15], v[212:213]
	v_fma_f64 v[210:211], v[210:211], s[4:5], v[214:215]
	v_add_f64 v[230:231], v[230:231], v[242:243]
	v_add_f64 v[242:243], v[248:249], -v[244:245]
	v_fma_f64 v[212:213], v[218:219], s[12:13], v[212:213]
	v_fma_f64 v[214:215], v[218:219], s[12:13], v[210:211]
	v_fma_f64 v[218:219], v[216:217], -0.5, v[220:221]
	v_add_f64 v[210:211], v[220:221], v[244:245]
	v_fma_f64 v[216:217], v[222:223], s[6:7], v[218:219]
	v_fma_f64 v[218:219], v[222:223], s[18:19], v[218:219]
	v_add_f64 v[210:211], v[210:211], v[248:249]
	v_add_f64 v[248:249], v[200:201], -v[196:197]
	v_fma_f64 v[216:217], v[225:226], s[4:5], v[216:217]
	v_fma_f64 v[218:219], v[225:226], s[14:15], v[218:219]
	v_add_f64 v[210:211], v[210:211], v[252:253]
	v_add_f64 v[246:247], v[246:247], v[248:249]
	v_add_f64 v[248:249], v[192:193], -v[184:185]
	v_fma_f64 v[216:217], v[230:231], s[12:13], v[216:217]
	v_fma_f64 v[218:219], v[230:231], s[12:13], v[218:219]
	v_add_f64 v[230:231], v[244:245], v[232:233]
	v_add_f64 v[210:211], v[210:211], v[232:233]
	v_add_f64 v[232:233], v[252:253], -v[232:233]
	v_add_f64 v[244:245], v[194:195], -v[198:199]
	v_add_f64 v[248:249], v[248:249], v[250:251]
	v_fma_f64 v[230:231], v[230:231], -0.5, v[220:221]
	v_add_f64 v[232:233], v[242:243], v[232:233]
	v_fma_f64 v[220:221], v[225:226], s[18:19], v[230:231]
	v_fma_f64 v[225:226], v[225:226], s[6:7], v[230:231]
	v_add_f64 v[230:231], v[192:193], v[196:197]
	v_fma_f64 v[220:221], v[222:223], s[4:5], v[220:221]
	v_fma_f64 v[222:223], v[222:223], s[14:15], v[225:226]
	v_fma_f64 v[230:231], v[230:231], -0.5, v[188:189]
	v_add_f64 v[225:226], v[188:189], v[184:185]
	v_fma_f64 v[220:221], v[232:233], s[12:13], v[220:221]
	v_fma_f64 v[222:223], v[232:233], s[12:13], v[222:223]
	v_add_f64 v[232:233], v[186:187], -v[202:203]
	v_add_f64 v[225:226], v[225:226], v[192:193]
	v_add_f64 v[192:193], v[192:193], -v[196:197]
	v_fma_f64 v[242:243], v[232:233], s[18:19], v[230:231]
	v_fma_f64 v[230:231], v[232:233], s[6:7], v[230:231]
	v_add_f64 v[225:226], v[225:226], v[196:197]
	v_fma_f64 v[242:243], v[244:245], s[14:15], v[242:243]
	v_fma_f64 v[230:231], v[244:245], s[4:5], v[230:231]
	v_add_f64 v[225:226], v[225:226], v[200:201]
	;; [unrolled: 3-line block ×3, first 2 shown]
	v_add_f64 v[184:185], v[184:185], -v[200:201]
	v_fma_f64 v[188:189], v[230:231], -0.5, v[188:189]
	v_fma_f64 v[230:231], v[244:245], s[6:7], v[188:189]
	v_fma_f64 v[188:189], v[244:245], s[18:19], v[188:189]
	;; [unrolled: 1-line block ×6, first 2 shown]
	v_add_f64 v[188:189], v[190:191], v[186:187]
	v_add_f64 v[230:231], v[202:203], -v[198:199]
	v_add_f64 v[188:189], v[188:189], v[194:195]
	v_add_f64 v[188:189], v[188:189], v[198:199]
	;; [unrolled: 1-line block ×4, first 2 shown]
	v_fma_f64 v[188:189], v[188:189], -0.5, v[190:191]
	v_fma_f64 v[200:201], v[184:185], s[6:7], v[188:189]
	v_fma_f64 v[188:189], v[184:185], s[18:19], v[188:189]
	v_fma_f64 v[196:197], v[192:193], s[4:5], v[200:201]
	v_add_f64 v[200:201], v[186:187], -v[194:195]
	v_fma_f64 v[188:189], v[192:193], s[14:15], v[188:189]
	v_add_f64 v[200:201], v[200:201], v[230:231]
	v_fma_f64 v[252:253], v[200:201], s[12:13], v[188:189]
	v_add_f64 v[188:189], v[186:187], v[202:203]
	v_add_f64 v[186:187], v[194:195], -v[186:187]
	v_add_f64 v[194:195], v[198:199], -v[202:203]
	v_fma_f64 v[248:249], v[200:201], s[12:13], v[196:197]
	v_fma_f64 v[188:189], v[188:189], -0.5, v[190:191]
	v_add_f64 v[186:187], v[186:187], v[194:195]
	v_mul_f64 v[194:195], v[242:243], s[4:5]
	v_fma_f64 v[190:191], v[192:193], s[18:19], v[188:189]
	v_fma_f64 v[188:189], v[192:193], s[6:7], v[188:189]
	v_fma_f64 v[190:191], v[184:185], s[4:5], v[190:191]
	v_fma_f64 v[184:185], v[184:185], s[14:15], v[188:189]
	v_add_f64 v[188:189], v[204:205], v[225:226]
	v_add_f64 v[204:205], v[204:205], -v[225:226]
	v_fma_f64 v[198:199], v[186:187], s[12:13], v[190:191]
	v_fma_f64 v[184:185], v[186:187], s[12:13], v[184:185]
	v_mul_f64 v[186:187], v[248:249], s[14:15]
	v_fma_f64 v[248:249], v[248:249], s[20:21], v[194:195]
	v_mul_f64 v[190:191], v[198:199], s[18:19]
	v_mul_f64 v[198:199], v[198:199], s[12:13]
	v_fma_f64 v[186:187], v[242:243], s[20:21], v[186:187]
	v_add_f64 v[194:195], v[216:217], v[248:249]
	v_fma_f64 v[254:255], v[250:251], s[12:13], v[190:191]
	v_mul_f64 v[190:191], v[184:185], s[18:19]
	s_mov_b32 s19, 0xbfd3c6ef
	s_mov_b32 s18, s12
	v_mul_f64 v[184:185], v[184:185], s[18:19]
	v_fma_f64 v[250:251], v[250:251], s[6:7], v[198:199]
	v_add_f64 v[192:193], v[208:209], v[186:187]
	v_add_f64 v[208:209], v[208:209], -v[186:187]
	v_add_f64 v[196:197], v[212:213], v[254:255]
	v_fma_f64 v[234:235], v[232:233], s[18:19], v[190:191]
	v_mul_f64 v[190:191], v[252:253], s[14:15]
	s_mov_b32 s15, 0xbfe9e377
	s_mov_b32 s14, s20
	v_fma_f64 v[238:239], v[232:233], s[6:7], v[184:185]
	v_mul_f64 v[184:185], v[252:253], s[14:15]
	v_add_f64 v[198:199], v[220:221], v[250:251]
	v_add_f64 v[212:213], v[212:213], -v[254:255]
	v_add_f64 v[200:201], v[214:215], v[234:235]
	v_fma_f64 v[236:237], v[246:247], s[14:15], v[190:191]
	v_add_f64 v[190:191], v[210:211], v[244:245]
	v_add_f64 v[242:243], v[214:215], -v[234:235]
	v_add_f64 v[202:203], v[222:223], v[238:239]
	v_fma_f64 v[246:247], v[246:247], s[4:5], v[184:185]
	v_add_f64 v[214:215], v[220:221], -v[250:251]
	v_add_f64 v[230:231], v[206:207], v[236:237]
	v_add_f64 v[184:185], v[206:207], -v[236:237]
	v_add_f64 v[206:207], v[210:211], -v[244:245]
	;; [unrolled: 1-line block ×3, first 2 shown]
	v_add_f64 v[232:233], v[218:219], v[246:247]
	v_add_f64 v[244:245], v[222:223], -v[238:239]
	v_add_f64 v[186:187], v[218:219], -v[246:247]
	ds_write_b128 v229, v[188:191]
	ds_write_b128 v229, v[192:195] offset:16
	ds_write_b128 v229, v[196:199] offset:32
	;; [unrolled: 1-line block ×9, first 2 shown]
	s_waitcnt lgkmcnt(0)
	s_barrier
	ds_read_b128 v[196:199], v227
	ds_read_b128 v[216:219], v227 offset:8640
	ds_read_b128 v[204:207], v227 offset:17280
	;; [unrolled: 1-line block ×8, first 2 shown]
	s_and_saveexec_b64 s[4:5], s[0:1]
	s_cbranch_execz .LBB0_19
; %bb.18:
	ds_read_b128 v[184:187], v227 offset:7776
	ds_read_b128 v[176:179], v227 offset:16416
	;; [unrolled: 1-line block ×3, first 2 shown]
.LBB0_19:
	s_or_b64 exec, exec, s[4:5]
	s_waitcnt lgkmcnt(7)
	v_mul_f64 v[225:226], v[46:47], v[218:219]
	v_mul_f64 v[46:47], v[46:47], v[216:217]
	s_waitcnt lgkmcnt(6)
	v_mul_f64 v[229:230], v[42:43], v[206:207]
	v_mul_f64 v[42:43], v[42:43], v[204:205]
	s_waitcnt lgkmcnt(4)
	v_mul_f64 v[231:232], v[54:55], v[210:211]
	v_mul_f64 v[54:55], v[54:55], v[208:209]
	s_waitcnt lgkmcnt(3)
	v_mul_f64 v[233:234], v[50:51], v[214:215]
	s_mov_b32 s4, 0xe8584caa
	v_fma_f64 v[216:217], v[44:45], v[216:217], v[225:226]
	v_fma_f64 v[44:45], v[44:45], v[218:219], -v[46:47]
	v_fma_f64 v[204:205], v[40:41], v[204:205], v[229:230]
	v_mul_f64 v[46:47], v[50:51], v[212:213]
	s_waitcnt lgkmcnt(1)
	v_mul_f64 v[50:51], v[62:63], v[222:223]
	v_fma_f64 v[40:41], v[40:41], v[206:207], -v[42:43]
	v_mul_f64 v[42:43], v[62:63], v[220:221]
	v_fma_f64 v[206:207], v[52:53], v[208:209], v[231:232]
	v_fma_f64 v[52:53], v[52:53], v[210:211], -v[54:55]
	v_fma_f64 v[208:209], v[48:49], v[212:213], v[233:234]
	s_waitcnt lgkmcnt(0)
	v_mul_f64 v[54:55], v[58:59], v[202:203]
	v_fma_f64 v[210:211], v[48:49], v[214:215], -v[46:47]
	v_fma_f64 v[50:51], v[60:61], v[220:221], v[50:51]
	v_mul_f64 v[46:47], v[58:59], v[200:201]
	v_fma_f64 v[42:43], v[60:61], v[222:223], -v[42:43]
	v_mul_f64 v[48:49], v[70:71], v[178:179]
	v_add_f64 v[60:61], v[216:217], v[204:205]
	v_mul_f64 v[62:63], v[66:67], v[180:181]
	v_mul_f64 v[58:59], v[70:71], v[176:177]
	v_fma_f64 v[70:71], v[56:57], v[200:201], v[54:55]
	v_mul_f64 v[54:55], v[66:67], v[182:183]
	v_fma_f64 v[200:201], v[56:57], v[202:203], -v[46:47]
	v_add_f64 v[56:57], v[44:45], -v[40:41]
	v_fma_f64 v[202:203], v[68:69], v[176:177], v[48:49]
	v_fma_f64 v[48:49], v[60:61], -0.5, v[196:197]
	v_fma_f64 v[212:213], v[64:65], v[182:183], -v[62:63]
	v_add_f64 v[62:63], v[44:45], v[40:41]
	v_add_f64 v[44:45], v[198:199], v[44:45]
	s_mov_b32 s5, 0xbfebb67a
	s_mov_b32 s7, 0x3febb67a
	;; [unrolled: 1-line block ×3, first 2 shown]
	v_fma_f64 v[60:61], v[64:65], v[180:181], v[54:55]
	v_fma_f64 v[54:55], v[56:57], s[4:5], v[48:49]
	v_add_f64 v[64:65], v[206:207], v[208:209]
	v_fma_f64 v[66:67], v[62:63], -0.5, v[198:199]
	v_fma_f64 v[62:63], v[56:57], s[6:7], v[48:49]
	v_add_f64 v[48:49], v[44:45], v[40:41]
	v_add_f64 v[40:41], v[52:53], v[210:211]
	v_fma_f64 v[58:59], v[68:69], v[178:179], -v[58:59]
	v_add_f64 v[68:69], v[216:217], -v[204:205]
	v_add_f64 v[44:45], v[192:193], v[206:207]
	v_fma_f64 v[178:179], v[64:65], -0.5, v[192:193]
	v_add_f64 v[180:181], v[52:53], -v[210:211]
	v_add_f64 v[182:183], v[50:51], v[70:71]
	v_add_f64 v[52:53], v[194:195], v[52:53]
	v_fma_f64 v[40:41], v[40:41], -0.5, v[194:195]
	v_add_f64 v[192:193], v[206:207], -v[208:209]
	v_fma_f64 v[56:57], v[68:69], s[6:7], v[66:67]
	v_fma_f64 v[64:65], v[68:69], s[4:5], v[66:67]
	v_add_f64 v[66:67], v[44:45], v[208:209]
	v_fma_f64 v[176:177], v[180:181], s[4:5], v[178:179]
	v_add_f64 v[44:45], v[188:189], v[50:51]
	v_fma_f64 v[194:195], v[182:183], -0.5, v[188:189]
	v_fma_f64 v[180:181], v[180:181], s[6:7], v[178:179]
	v_add_f64 v[68:69], v[52:53], v[210:211]
	v_fma_f64 v[178:179], v[192:193], s[6:7], v[40:41]
	v_add_f64 v[52:53], v[42:43], v[200:201]
	;; [unrolled: 2-line block ×3, first 2 shown]
	v_add_f64 v[46:47], v[196:197], v[216:217]
	v_add_f64 v[196:197], v[42:43], -v[200:201]
	v_add_f64 v[188:189], v[44:45], v[70:71]
	v_add_f64 v[50:51], v[50:51], -v[70:71]
	v_add_f64 v[70:71], v[184:185], v[202:203]
	v_fma_f64 v[52:53], v[52:53], -0.5, v[190:191]
	v_add_f64 v[44:45], v[58:59], v[212:213]
	v_fma_f64 v[40:41], v[40:41], -0.5, v[184:185]
	v_add_f64 v[184:185], v[58:59], -v[212:213]
	v_add_f64 v[46:47], v[46:47], v[204:205]
	v_fma_f64 v[192:193], v[196:197], s[4:5], v[194:195]
	v_fma_f64 v[196:197], v[196:197], s[6:7], v[194:195]
	v_add_f64 v[204:205], v[186:187], v[58:59]
	v_fma_f64 v[194:195], v[50:51], s[6:7], v[52:53]
	v_fma_f64 v[198:199], v[50:51], s[4:5], v[52:53]
	;; [unrolled: 1-line block ×4, first 2 shown]
	s_barrier
	buffer_load_dword v40, off, s[24:27], 0 offset:16 ; 4-byte Folded Reload
	v_add_f64 v[42:43], v[190:191], v[42:43]
	v_fma_f64 v[186:187], v[44:45], -0.5, v[186:187]
	v_add_f64 v[202:203], v[202:203], -v[60:61]
	v_add_f64 v[44:45], v[204:205], v[212:213]
	s_waitcnt vmcnt(0)
	ds_write_b128 v40, v[46:49]
	ds_write_b128 v40, v[54:57] offset:160
	ds_write_b128 v40, v[62:65] offset:320
	buffer_load_dword v40, off, s[24:27], 0 offset:20 ; 4-byte Folded Reload
	v_add_f64 v[190:191], v[42:43], v[200:201]
	v_add_f64 v[42:43], v[70:71], v[60:61]
	v_fma_f64 v[52:53], v[202:203], s[6:7], v[186:187]
	v_fma_f64 v[60:61], v[202:203], s[4:5], v[186:187]
	s_waitcnt vmcnt(0)
	ds_write_b128 v40, v[66:69]
	ds_write_b128 v40, v[176:179] offset:160
	ds_write_b128 v40, v[180:183] offset:320
	buffer_load_dword v40, off, s[24:27], 0 offset:24 ; 4-byte Folded Reload
	s_waitcnt vmcnt(0)
	ds_write_b128 v40, v[188:191]
	ds_write_b128 v40, v[192:195] offset:160
	ds_write_b128 v40, v[196:199] offset:320
	s_and_saveexec_b64 s[4:5], s[0:1]
	s_cbranch_execz .LBB0_21
; %bb.20:
	buffer_load_dword v40, off, s[24:27], 0 offset:28 ; 4-byte Folded Reload
	s_waitcnt vmcnt(0)
	v_lshlrev_b32_e32 v40, 4, v40
	ds_write_b128 v40, v[42:45]
	ds_write_b128 v40, v[50:53] offset:160
	ds_write_b128 v40, v[58:61] offset:320
.LBB0_21:
	s_or_b64 exec, exec, s[4:5]
	s_waitcnt lgkmcnt(0)
	s_barrier
	ds_read_b128 v[62:65], v227
	ds_read_b128 v[54:57], v227 offset:2592
	ds_read_b128 v[184:187], v227 offset:17280
	;; [unrolled: 1-line block ×8, first 2 shown]
	s_and_saveexec_b64 s[4:5], s[0:1]
	s_cbranch_execz .LBB0_23
; %bb.22:
	ds_read_b128 v[42:45], v227 offset:7776
	ds_read_b128 v[50:53], v227 offset:16416
	;; [unrolled: 1-line block ×3, first 2 shown]
.LBB0_23:
	s_or_b64 exec, exec, s[4:5]
	s_waitcnt lgkmcnt(4)
	v_mul_f64 v[40:41], v[78:79], v[194:195]
	v_mul_f64 v[70:71], v[78:79], v[192:193]
	;; [unrolled: 1-line block ×4, first 2 shown]
	s_waitcnt lgkmcnt(2)
	v_mul_f64 v[196:197], v[86:87], v[190:191]
	v_mul_f64 v[86:87], v[86:87], v[188:189]
	;; [unrolled: 1-line block ×3, first 2 shown]
	s_mov_b32 s4, 0xe8584caa
	v_fma_f64 v[40:41], v[76:77], v[192:193], v[40:41]
	v_fma_f64 v[70:71], v[76:77], v[194:195], -v[70:71]
	v_fma_f64 v[76:77], v[72:73], v[184:185], v[78:79]
	v_mul_f64 v[78:79], v[82:83], v[176:177]
	s_waitcnt lgkmcnt(1)
	v_mul_f64 v[82:83], v[94:95], v[182:183]
	v_fma_f64 v[72:73], v[72:73], v[186:187], -v[74:75]
	v_mul_f64 v[74:75], v[94:95], v[180:181]
	v_fma_f64 v[94:95], v[84:85], v[188:189], v[196:197]
	v_fma_f64 v[84:85], v[84:85], v[190:191], -v[86:87]
	v_fma_f64 v[86:87], v[80:81], v[176:177], v[198:199]
	s_waitcnt lgkmcnt(0)
	v_mul_f64 v[176:177], v[90:91], v[68:69]
	v_fma_f64 v[80:81], v[80:81], v[178:179], -v[78:79]
	v_fma_f64 v[178:179], v[92:93], v[180:181], v[82:83]
	v_mul_f64 v[78:79], v[90:91], v[66:67]
	v_fma_f64 v[90:91], v[92:93], v[182:183], -v[74:75]
	v_mul_f64 v[74:75], v[102:103], v[52:53]
	v_mul_f64 v[82:83], v[102:103], v[50:51]
	v_add_f64 v[92:93], v[40:41], v[76:77]
	v_fma_f64 v[66:67], v[88:89], v[66:67], v[176:177]
	s_mov_b32 s5, 0xbfebb67a
	s_mov_b32 s6, s4
	v_fma_f64 v[68:69], v[88:89], v[68:69], -v[78:79]
	v_add_f64 v[78:79], v[62:63], v[40:41]
	v_fma_f64 v[176:177], v[100:101], v[50:51], v[74:75]
	v_fma_f64 v[52:53], v[100:101], v[52:53], -v[82:83]
	v_fma_f64 v[50:51], v[92:93], -0.5, v[62:63]
	v_add_f64 v[74:75], v[70:71], -v[72:73]
	v_add_f64 v[82:83], v[70:71], v[72:73]
	v_mul_f64 v[102:103], v[98:99], v[60:61]
	v_mul_f64 v[98:99], v[98:99], v[58:59]
	v_add_f64 v[62:63], v[78:79], v[76:77]
	v_add_f64 v[78:79], v[64:65], v[70:71]
	;; [unrolled: 1-line block ×3, first 2 shown]
	v_add_f64 v[40:41], v[40:41], -v[76:77]
	v_fma_f64 v[70:71], v[74:75], s[4:5], v[50:51]
	v_fma_f64 v[82:83], v[82:83], -0.5, v[64:65]
	v_fma_f64 v[74:75], v[74:75], s[6:7], v[50:51]
	v_add_f64 v[50:51], v[84:85], v[80:81]
	v_fma_f64 v[58:59], v[96:97], v[58:59], v[102:103]
	v_fma_f64 v[60:61], v[96:97], v[60:61], -v[98:99]
	v_add_f64 v[64:65], v[78:79], v[72:73]
	v_add_f64 v[78:79], v[54:55], v[94:95]
	v_fma_f64 v[54:55], v[88:89], -0.5, v[54:55]
	v_add_f64 v[88:89], v[84:85], -v[80:81]
	v_fma_f64 v[72:73], v[40:41], s[6:7], v[82:83]
	v_add_f64 v[92:93], v[178:179], v[66:67]
	v_fma_f64 v[76:77], v[40:41], s[4:5], v[82:83]
	v_add_f64 v[40:41], v[56:57], v[84:85]
	v_fma_f64 v[50:51], v[50:51], -0.5, v[56:57]
	v_add_f64 v[56:57], v[94:95], -v[86:87]
	v_add_f64 v[94:95], v[46:47], v[178:179]
	v_add_f64 v[96:97], v[90:91], v[68:69]
	;; [unrolled: 1-line block ×3, first 2 shown]
	v_fma_f64 v[82:83], v[88:89], s[4:5], v[54:55]
	v_fma_f64 v[46:47], v[92:93], -0.5, v[46:47]
	v_add_f64 v[92:93], v[90:91], -v[68:69]
	v_fma_f64 v[86:87], v[88:89], s[6:7], v[54:55]
	v_add_f64 v[80:81], v[40:41], v[80:81]
	v_fma_f64 v[84:85], v[56:57], s[6:7], v[50:51]
	v_fma_f64 v[88:89], v[56:57], s[4:5], v[50:51]
	v_add_f64 v[40:41], v[94:95], v[66:67]
	v_add_f64 v[56:57], v[176:177], v[58:59]
	;; [unrolled: 1-line block ×3, first 2 shown]
	v_fma_f64 v[48:49], v[96:97], -0.5, v[48:49]
	v_add_f64 v[66:67], v[178:179], -v[66:67]
	v_fma_f64 v[54:55], v[92:93], s[4:5], v[46:47]
	v_fma_f64 v[50:51], v[92:93], s[6:7], v[46:47]
	v_add_f64 v[46:47], v[52:53], v[60:61]
	v_add_f64 v[96:97], v[52:53], -v[60:61]
	v_fma_f64 v[94:95], v[56:57], -0.5, v[42:43]
	v_add_f64 v[98:99], v[44:45], v[52:53]
	v_fma_f64 v[56:57], v[66:67], s[6:7], v[48:49]
	v_fma_f64 v[52:53], v[66:67], s[4:5], v[48:49]
	s_barrier
	buffer_load_dword v48, off, s[24:27], 0 offset:32 ; 4-byte Folded Reload
	v_add_f64 v[92:93], v[42:43], v[176:177]
	v_fma_f64 v[46:47], v[46:47], -0.5, v[44:45]
	v_add_f64 v[100:101], v[176:177], -v[58:59]
	v_add_f64 v[42:43], v[90:91], v[68:69]
	v_fma_f64 v[66:67], v[96:97], s[4:5], v[94:95]
	v_fma_f64 v[44:45], v[96:97], s[6:7], v[94:95]
	v_add_f64 v[60:61], v[98:99], v[60:61]
	s_waitcnt vmcnt(0)
	ds_write_b128 v48, v[62:65]
	ds_write_b128 v48, v[70:73] offset:480
	ds_write_b128 v48, v[74:77] offset:960
	buffer_load_dword v48, off, s[24:27], 0 offset:36 ; 4-byte Folded Reload
	v_add_f64 v[58:59], v[92:93], v[58:59]
	v_fma_f64 v[68:69], v[100:101], s[6:7], v[46:47]
	v_fma_f64 v[46:47], v[100:101], s[4:5], v[46:47]
	s_waitcnt vmcnt(0)
	ds_write_b128 v48, v[78:81]
	ds_write_b128 v48, v[82:85] offset:480
	ds_write_b128 v48, v[86:89] offset:960
	ds_write_b128 v240, v[40:43]
	ds_write_b128 v240, v[54:57] offset:480
	ds_write_b128 v240, v[50:53] offset:960
	s_and_saveexec_b64 s[4:5], s[0:1]
	s_cbranch_execz .LBB0_25
; %bb.24:
	buffer_load_dword v48, off, s[24:27], 0 ; 4-byte Folded Reload
	buffer_load_dword v49, off, s[24:27], 0 offset:4 ; 4-byte Folded Reload
	s_movk_i32 s6, 0x5a
	s_waitcnt vmcnt(0)
	v_mad_legacy_u16 v48, v48, s6, v49
	v_lshlrev_b32_e32 v48, 4, v48
	ds_write_b128 v48, v[58:61]
	ds_write_b128 v48, v[66:69] offset:480
	ds_write_b128 v48, v[44:47] offset:960
.LBB0_25:
	s_or_b64 exec, exec, s[4:5]
	s_waitcnt lgkmcnt(0)
	s_barrier
	ds_read_b128 v[62:65], v227
	ds_read_b128 v[86:89], v227 offset:4320
	ds_read_b128 v[82:85], v227 offset:8640
	;; [unrolled: 1-line block ×5, first 2 shown]
	s_and_saveexec_b64 s[4:5], s[2:3]
	s_cbranch_execz .LBB0_27
; %bb.26:
	ds_read_b128 v[40:43], v227 offset:2592
	ds_read_b128 v[54:57], v227 offset:6912
	;; [unrolled: 1-line block ×6, first 2 shown]
.LBB0_27:
	s_or_b64 exec, exec, s[4:5]
	s_waitcnt lgkmcnt(4)
	v_mul_f64 v[48:49], v[118:119], v[88:89]
	v_mul_f64 v[90:91], v[118:119], v[86:87]
	s_waitcnt lgkmcnt(3)
	v_mul_f64 v[94:95], v[114:115], v[82:83]
	s_waitcnt lgkmcnt(2)
	v_mul_f64 v[96:97], v[110:111], v[80:81]
	v_mul_f64 v[92:93], v[114:115], v[84:85]
	;; [unrolled: 1-line block ×3, first 2 shown]
	s_mov_b32 s6, 0xe8584caa
	s_mov_b32 s7, 0xbfebb67a
	v_fma_f64 v[48:49], v[116:117], v[86:87], v[48:49]
	v_fma_f64 v[86:87], v[116:117], v[88:89], -v[90:91]
	s_waitcnt lgkmcnt(1)
	v_mul_f64 v[88:89], v[106:107], v[76:77]
	v_fma_f64 v[84:85], v[112:113], v[84:85], -v[94:95]
	v_mul_f64 v[90:91], v[106:107], v[74:75]
	v_fma_f64 v[78:79], v[108:109], v[78:79], v[96:97]
	s_waitcnt lgkmcnt(0)
	v_mul_f64 v[94:95], v[122:123], v[70:71]
	v_mul_f64 v[96:97], v[142:143], v[56:57]
	v_fma_f64 v[82:83], v[112:113], v[82:83], v[92:93]
	v_mul_f64 v[92:93], v[122:123], v[72:73]
	v_fma_f64 v[74:75], v[104:105], v[74:75], v[88:89]
	v_mul_f64 v[88:89], v[134:135], v[52:53]
	v_fma_f64 v[80:81], v[108:109], v[80:81], -v[98:99]
	v_mul_f64 v[98:99], v[142:143], v[54:55]
	v_fma_f64 v[72:73], v[120:121], v[72:73], -v[94:95]
	v_fma_f64 v[94:95], v[140:141], v[54:55], v[96:97]
	v_mul_f64 v[54:55], v[134:135], v[50:51]
	v_fma_f64 v[76:77], v[104:105], v[76:77], -v[90:91]
	v_fma_f64 v[70:71], v[120:121], v[70:71], v[92:93]
	v_fma_f64 v[50:51], v[132:133], v[50:51], v[88:89]
	v_mul_f64 v[88:89], v[126:127], v[68:69]
	v_fma_f64 v[98:99], v[140:141], v[56:57], -v[98:99]
	v_mul_f64 v[56:57], v[130:131], v[60:61]
	v_mul_f64 v[90:91], v[130:131], v[58:59]
	;; [unrolled: 1-line block ×3, first 2 shown]
	v_fma_f64 v[54:55], v[132:133], v[52:53], -v[54:55]
	v_add_f64 v[52:53], v[82:83], v[74:75]
	v_mul_f64 v[96:97], v[138:139], v[46:47]
	v_fma_f64 v[66:67], v[124:125], v[66:67], v[88:89]
	v_add_f64 v[88:89], v[80:81], v[72:73]
	v_fma_f64 v[100:101], v[128:129], v[58:59], v[56:57]
	v_fma_f64 v[60:61], v[128:129], v[60:61], -v[90:91]
	v_add_f64 v[56:57], v[62:63], v[82:83]
	v_fma_f64 v[58:59], v[124:125], v[68:69], -v[92:93]
	v_fma_f64 v[52:53], v[52:53], -0.5, v[62:63]
	v_add_f64 v[62:63], v[84:85], -v[76:77]
	v_add_f64 v[90:91], v[78:79], v[70:71]
	v_fma_f64 v[88:89], v[88:89], -0.5, v[86:87]
	v_add_f64 v[92:93], v[78:79], -v[70:71]
	s_mov_b32 s5, 0x3febb67a
	s_mov_b32 s4, s6
	v_fma_f64 v[68:69], v[136:137], v[44:45], v[96:97]
	v_mul_f64 v[44:45], v[138:139], v[44:45]
	v_fma_f64 v[96:97], v[62:63], s[6:7], v[52:53]
	v_add_f64 v[102:103], v[84:85], v[76:77]
	v_fma_f64 v[90:91], v[90:91], -0.5, v[48:49]
	v_add_f64 v[104:105], v[80:81], -v[72:73]
	v_fma_f64 v[52:53], v[62:63], s[4:5], v[52:53]
	v_fma_f64 v[62:63], v[92:93], s[4:5], v[88:89]
	;; [unrolled: 1-line block ×3, first 2 shown]
	v_add_f64 v[84:85], v[64:65], v[84:85]
	v_add_f64 v[48:49], v[48:49], v[78:79]
	;; [unrolled: 1-line block ×3, first 2 shown]
	v_fma_f64 v[64:65], v[102:103], -0.5, v[64:65]
	v_add_f64 v[74:75], v[82:83], -v[74:75]
	v_fma_f64 v[82:83], v[104:105], s[4:5], v[90:91]
	v_fma_f64 v[44:45], v[136:137], v[46:47], -v[44:45]
	v_fma_f64 v[78:79], v[104:105], s[6:7], v[90:91]
	v_add_f64 v[102:103], v[84:85], v[76:77]
	v_mul_f64 v[76:77], v[88:89], -0.5
	v_add_f64 v[48:49], v[48:49], v[70:71]
	v_mul_f64 v[90:91], v[62:63], s[6:7]
	v_mul_f64 v[92:93], v[88:89], s[6:7]
	v_add_f64 v[80:81], v[86:87], v[80:81]
	v_mul_f64 v[62:63], v[62:63], 0.5
	v_add_f64 v[46:47], v[50:51], v[66:67]
	v_fma_f64 v[104:105], v[74:75], s[4:5], v[64:65]
	v_fma_f64 v[110:111], v[82:83], s[4:5], v[76:77]
	v_add_f64 v[76:77], v[56:57], v[48:49]
	v_add_f64 v[88:89], v[56:57], -v[48:49]
	v_add_f64 v[48:49], v[60:61], v[44:45]
	v_fma_f64 v[70:71], v[78:79], 0.5, v[90:91]
	v_fma_f64 v[90:91], v[82:83], -0.5, v[92:93]
	v_add_f64 v[72:73], v[80:81], v[72:73]
	v_fma_f64 v[106:107], v[74:75], s[6:7], v[64:65]
	v_fma_f64 v[108:109], v[78:79], s[4:5], v[62:63]
	v_add_f64 v[56:57], v[40:41], v[50:51]
	v_fma_f64 v[40:41], v[46:47], -0.5, v[40:41]
	v_add_f64 v[46:47], v[54:55], -v[58:59]
	v_add_f64 v[62:63], v[100:101], v[68:69]
	v_fma_f64 v[48:49], v[48:49], -0.5, v[98:99]
	v_add_f64 v[64:65], v[100:101], -v[68:69]
	v_add_f64 v[80:81], v[96:97], v[70:71]
	v_add_f64 v[84:85], v[52:53], v[90:91]
	;; [unrolled: 1-line block ×3, first 2 shown]
	v_add_f64 v[92:93], v[96:97], -v[70:71]
	v_add_f64 v[96:97], v[52:53], -v[90:91]
	;; [unrolled: 1-line block ×3, first 2 shown]
	v_add_f64 v[52:53], v[56:57], v[66:67]
	v_add_f64 v[70:71], v[42:43], v[54:55]
	;; [unrolled: 1-line block ×3, first 2 shown]
	v_fma_f64 v[54:55], v[46:47], s[6:7], v[40:41]
	v_fma_f64 v[62:63], v[62:63], -0.5, v[94:95]
	v_add_f64 v[74:75], v[60:61], -v[44:45]
	v_fma_f64 v[56:57], v[46:47], s[4:5], v[40:41]
	v_fma_f64 v[40:41], v[64:65], s[4:5], v[48:49]
	;; [unrolled: 1-line block ×3, first 2 shown]
	v_add_f64 v[48:49], v[50:51], -v[66:67]
	v_fma_f64 v[42:43], v[72:73], -0.5, v[42:43]
	v_add_f64 v[50:51], v[94:95], v[100:101]
	v_add_f64 v[94:95], v[98:99], v[60:61]
	v_fma_f64 v[72:73], v[74:75], s[6:7], v[62:63]
	v_fma_f64 v[74:75], v[74:75], s[4:5], v[62:63]
	v_mul_f64 v[62:63], v[40:41], s[6:7]
	v_mul_f64 v[64:65], v[46:47], s[6:7]
	v_mul_f64 v[40:41], v[40:41], 0.5
	v_mul_f64 v[46:47], v[46:47], -0.5
	v_add_f64 v[58:59], v[70:71], v[58:59]
	v_fma_f64 v[66:67], v[48:49], s[4:5], v[42:43]
	v_fma_f64 v[70:71], v[48:49], s[6:7], v[42:43]
	v_add_f64 v[60:61], v[50:51], v[68:69]
	v_fma_f64 v[62:63], v[72:73], 0.5, v[62:63]
	v_fma_f64 v[64:65], v[74:75], -0.5, v[64:65]
	v_add_f64 v[68:69], v[94:95], v[44:45]
	v_fma_f64 v[72:73], v[72:73], s[4:5], v[40:41]
	v_fma_f64 v[74:75], v[74:75], s[4:5], v[46:47]
	v_add_f64 v[82:83], v[104:105], v[108:109]
	v_add_f64 v[86:87], v[106:107], v[110:111]
	v_add_f64 v[40:41], v[52:53], -v[60:61]
	v_add_f64 v[44:45], v[54:55], -v[62:63]
	v_add_f64 v[48:49], v[56:57], -v[64:65]
	v_add_f64 v[42:43], v[58:59], -v[68:69]
	v_add_f64 v[46:47], v[66:67], -v[72:73]
	v_add_f64 v[50:51], v[70:71], -v[74:75]
	v_add_f64 v[94:95], v[104:105], -v[108:109]
	v_add_f64 v[98:99], v[106:107], -v[110:111]
	s_barrier
	ds_write_b128 v241, v[76:79]
	ds_write_b128 v241, v[80:83] offset:1440
	ds_write_b128 v241, v[84:87] offset:2880
	ds_write_b128 v241, v[88:91] offset:4320
	ds_write_b128 v241, v[92:95] offset:5760
	ds_write_b128 v241, v[96:99] offset:7200
	s_and_saveexec_b64 s[4:5], s[2:3]
	s_cbranch_execz .LBB0_29
; %bb.28:
	v_add_f64 v[76:77], v[52:53], v[60:61]
	buffer_load_dword v52, off, s[24:27], 0 offset:8 ; 4-byte Folded Reload
	buffer_load_dword v53, off, s[24:27], 0 offset:12 ; 4-byte Folded Reload
	v_add_f64 v[78:79], v[58:59], v[68:69]
	v_add_f64 v[70:71], v[70:71], v[74:75]
	;; [unrolled: 1-line block ×5, first 2 shown]
	s_movk_i32 s2, 0x21c
	s_waitcnt vmcnt(0)
	v_mad_legacy_u16 v52, v52, s2, v53
	v_lshlrev_b32_e32 v52, 4, v52
	ds_write_b128 v52, v[76:79]
	ds_write_b128 v52, v[72:75] offset:1440
	ds_write_b128 v52, v[68:71] offset:2880
	;; [unrolled: 1-line block ×5, first 2 shown]
.LBB0_29:
	s_or_b64 exec, exec, s[4:5]
	s_waitcnt lgkmcnt(0)
	s_barrier
	ds_read_b128 v[60:63], v227
	ds_read_b128 v[56:59], v227 offset:2592
	ds_read_b128 v[80:83], v227 offset:17280
	;; [unrolled: 1-line block ×8, first 2 shown]
	s_and_saveexec_b64 s[2:3], s[0:1]
	s_cbranch_execz .LBB0_31
; %bb.30:
	ds_read_b128 v[40:43], v227 offset:7776
	ds_read_b128 v[44:47], v227 offset:16416
	;; [unrolled: 1-line block ×3, first 2 shown]
.LBB0_31:
	s_or_b64 exec, exec, s[2:3]
	s_waitcnt lgkmcnt(4)
	v_mul_f64 v[88:89], v[146:147], v[86:87]
	v_mul_f64 v[90:91], v[150:151], v[82:83]
	;; [unrolled: 1-line block ×4, first 2 shown]
	s_waitcnt lgkmcnt(2)
	v_mul_f64 v[96:97], v[162:163], v[78:79]
	v_mul_f64 v[100:101], v[166:167], v[70:71]
	;; [unrolled: 1-line block ×3, first 2 shown]
	s_waitcnt lgkmcnt(0)
	v_mul_f64 v[106:107], v[170:171], v[64:65]
	v_fma_f64 v[84:85], v[144:145], v[84:85], v[88:89]
	v_fma_f64 v[80:81], v[148:149], v[80:81], v[90:91]
	v_fma_f64 v[86:87], v[144:145], v[86:87], -v[92:93]
	v_fma_f64 v[82:83], v[148:149], v[82:83], -v[94:95]
	v_mul_f64 v[88:89], v[166:167], v[68:69]
	v_mul_f64 v[90:91], v[174:175], v[74:75]
	v_fma_f64 v[94:95], v[160:161], v[76:77], v[96:97]
	v_fma_f64 v[96:97], v[164:165], v[68:69], v[100:101]
	v_mul_f64 v[102:103], v[174:175], v[72:73]
	v_mul_f64 v[104:105], v[170:171], v[66:67]
	v_add_f64 v[92:93], v[84:85], v[80:81]
	v_add_f64 v[68:69], v[60:61], v[84:85]
	;; [unrolled: 1-line block ×3, first 2 shown]
	v_fma_f64 v[78:79], v[160:161], v[78:79], -v[98:99]
	v_fma_f64 v[88:89], v[164:165], v[70:71], -v[88:89]
	v_fma_f64 v[90:91], v[172:173], v[72:73], v[90:91]
	v_add_f64 v[72:73], v[86:87], -v[82:83]
	v_add_f64 v[86:87], v[62:63], v[86:87]
	v_fma_f64 v[98:99], v[168:169], v[66:67], -v[106:107]
	v_add_f64 v[66:67], v[94:95], v[96:97]
	v_fma_f64 v[74:75], v[172:173], v[74:75], -v[102:103]
	v_fma_f64 v[70:71], v[92:93], -0.5, v[60:61]
	v_fma_f64 v[92:93], v[168:169], v[64:65], v[104:105]
	v_add_f64 v[60:61], v[68:69], v[80:81]
	v_fma_f64 v[76:77], v[76:77], -0.5, v[62:63]
	v_add_f64 v[80:81], v[84:85], -v[80:81]
	v_add_f64 v[84:85], v[56:57], v[94:95]
	v_add_f64 v[62:63], v[86:87], v[82:83]
	;; [unrolled: 1-line block ×3, first 2 shown]
	s_mov_b32 s2, 0xe8584caa
	s_mov_b32 s3, 0xbfebb67a
	;; [unrolled: 1-line block ×4, first 2 shown]
	v_fma_f64 v[100:101], v[66:67], -0.5, v[56:57]
	v_add_f64 v[102:103], v[78:79], -v[88:89]
	v_fma_f64 v[64:65], v[72:73], s[2:3], v[70:71]
	v_fma_f64 v[68:69], v[72:73], s[4:5], v[70:71]
	;; [unrolled: 1-line block ×4, first 2 shown]
	v_add_f64 v[56:57], v[84:85], v[96:97]
	v_add_f64 v[80:81], v[90:91], v[92:93]
	;; [unrolled: 1-line block ×4, first 2 shown]
	v_fma_f64 v[82:83], v[82:83], -0.5, v[58:59]
	v_add_f64 v[86:87], v[94:95], -v[96:97]
	v_fma_f64 v[72:73], v[102:103], s[2:3], v[100:101]
	v_fma_f64 v[76:77], v[102:103], s[4:5], v[100:101]
	v_add_f64 v[94:95], v[52:53], v[90:91]
	v_add_f64 v[102:103], v[54:55], v[74:75]
	v_fma_f64 v[96:97], v[80:81], -0.5, v[52:53]
	v_add_f64 v[100:101], v[74:75], -v[98:99]
	v_fma_f64 v[104:105], v[84:85], -0.5, v[54:55]
	v_add_f64 v[90:91], v[90:91], -v[92:93]
	v_add_f64 v[58:59], v[78:79], v[88:89]
	v_fma_f64 v[74:75], v[86:87], s[4:5], v[82:83]
	v_fma_f64 v[78:79], v[86:87], s[2:3], v[82:83]
	v_add_f64 v[52:53], v[94:95], v[92:93]
	v_add_f64 v[54:55], v[102:103], v[98:99]
	v_fma_f64 v[80:81], v[100:101], s[2:3], v[96:97]
	v_fma_f64 v[84:85], v[100:101], s[4:5], v[96:97]
	;; [unrolled: 1-line block ×4, first 2 shown]
	ds_write_b128 v227, v[60:63]
	ds_write_b128 v227, v[64:67] offset:8640
	ds_write_b128 v227, v[68:71] offset:17280
	;; [unrolled: 1-line block ×8, first 2 shown]
	s_and_saveexec_b64 s[6:7], s[0:1]
	s_cbranch_execz .LBB0_33
; %bb.32:
	v_mul_f64 v[52:53], v[154:155], v[44:45]
	v_mul_f64 v[54:55], v[158:159], v[48:49]
	;; [unrolled: 1-line block ×4, first 2 shown]
	v_fma_f64 v[46:47], v[152:153], v[46:47], -v[52:53]
	v_fma_f64 v[50:51], v[156:157], v[50:51], -v[54:55]
	v_fma_f64 v[44:45], v[152:153], v[44:45], v[56:57]
	v_fma_f64 v[48:49], v[156:157], v[48:49], v[58:59]
	v_add_f64 v[58:59], v[42:43], v[46:47]
	v_add_f64 v[52:53], v[46:47], v[50:51]
	v_add_f64 v[60:61], v[46:47], -v[50:51]
	v_add_f64 v[54:55], v[44:45], v[48:49]
	v_add_f64 v[56:57], v[44:45], -v[48:49]
	v_add_f64 v[44:45], v[40:41], v[44:45]
	v_fma_f64 v[52:53], v[52:53], -0.5, v[42:43]
	v_add_f64 v[42:43], v[58:59], v[50:51]
	v_fma_f64 v[54:55], v[54:55], -0.5, v[40:41]
	v_add_f64 v[40:41], v[44:45], v[48:49]
	v_fma_f64 v[50:51], v[56:57], s[4:5], v[52:53]
	v_fma_f64 v[46:47], v[56:57], s[2:3], v[52:53]
	;; [unrolled: 1-line block ×4, first 2 shown]
	ds_write_b128 v227, v[40:43] offset:7776
	ds_write_b128 v227, v[48:51] offset:16416
	;; [unrolled: 1-line block ×3, first 2 shown]
.LBB0_33:
	s_or_b64 exec, exec, s[6:7]
	s_waitcnt lgkmcnt(0)
	s_barrier
	ds_read_b128 v[40:43], v227
	ds_read_b128 v[44:47], v227 offset:2592
	v_mad_u64_u32 v[48:49], s[0:1], s10, v224, 0
	s_mul_i32 s2, s9, 0xa20
	s_waitcnt lgkmcnt(1)
	v_mul_f64 v[50:51], v[34:35], v[42:43]
	v_mul_f64 v[34:35], v[34:35], v[40:41]
	s_mul_hi_u32 s3, s8, 0xa20
	s_add_i32 s2, s3, s2
	s_mul_i32 s3, s8, 0xa20
	v_mad_u64_u32 v[52:53], s[0:1], s11, v224, v[49:50]
	v_mad_u64_u32 v[53:54], s[0:1], s8, v228, 0
	v_fma_f64 v[40:41], v[32:33], v[40:41], v[50:51]
	v_fma_f64 v[34:35], v[32:33], v[42:43], -v[34:35]
	v_mov_b32_e32 v32, v54
	v_mad_u64_u32 v[42:43], s[0:1], s9, v228, v[32:33]
	s_mov_b32 s0, 0x30abee4d
	s_mov_b32 s1, 0x3f443a27
	v_mov_b32_e32 v54, v42
	s_waitcnt lgkmcnt(0)
	v_mul_f64 v[42:43], v[14:15], v[46:47]
	v_mul_f64 v[14:15], v[14:15], v[44:45]
	v_mov_b32_e32 v49, v52
	v_mul_f64 v[32:33], v[40:41], s[0:1]
	v_mul_f64 v[34:35], v[34:35], s[0:1]
	v_lshlrev_b64 v[40:41], 4, v[48:49]
	v_mov_b32_e32 v48, s17
	v_add_co_u32_e32 v49, vcc, s16, v40
	v_fma_f64 v[42:43], v[12:13], v[44:45], v[42:43]
	v_fma_f64 v[44:45], v[12:13], v[46:47], -v[14:15]
	ds_read_b128 v[12:15], v227 offset:5184
	v_addc_co_u32_e32 v48, vcc, v48, v41, vcc
	v_lshlrev_b64 v[40:41], 4, v[53:54]
	v_mov_b32_e32 v50, s2
	v_add_co_u32_e32 v46, vcc, v49, v40
	v_addc_co_u32_e32 v47, vcc, v48, v41, vcc
	global_store_dwordx4 v[46:47], v[32:35], off
	v_add_co_u32_e32 v46, vcc, s3, v46
	v_mul_f64 v[32:33], v[42:43], s[0:1]
	ds_read_b128 v[40:43], v227 offset:7776
	s_waitcnt lgkmcnt(1)
	v_mul_f64 v[48:49], v[26:27], v[14:15]
	v_mul_f64 v[26:27], v[26:27], v[12:13]
	;; [unrolled: 1-line block ×3, first 2 shown]
	v_addc_co_u32_e32 v47, vcc, v47, v50, vcc
	s_waitcnt lgkmcnt(0)
	v_mul_f64 v[44:45], v[2:3], v[42:43]
	v_mul_f64 v[2:3], v[2:3], v[40:41]
	v_fma_f64 v[12:13], v[24:25], v[12:13], v[48:49]
	v_fma_f64 v[14:15], v[24:25], v[14:15], -v[26:27]
	ds_read_b128 v[24:27], v227 offset:10368
	global_store_dwordx4 v[46:47], v[32:35], off
	v_mov_b32_e32 v48, s2
	v_fma_f64 v[32:33], v[0:1], v[40:41], v[44:45]
	v_fma_f64 v[34:35], v[0:1], v[42:43], -v[2:3]
	ds_read_b128 v[0:3], v227 offset:12960
	v_mul_f64 v[12:13], v[12:13], s[0:1]
	v_mul_f64 v[14:15], v[14:15], s[0:1]
	s_waitcnt lgkmcnt(1)
	v_mul_f64 v[40:41], v[6:7], v[26:27]
	v_mul_f64 v[6:7], v[6:7], v[24:25]
	v_add_co_u32_e32 v42, vcc, s3, v46
	v_addc_co_u32_e32 v43, vcc, v47, v48, vcc
	global_store_dwordx4 v[42:43], v[12:15], off
	s_nop 0
	v_mul_f64 v[12:13], v[32:33], s[0:1]
	v_mul_f64 v[14:15], v[34:35], s[0:1]
	v_fma_f64 v[24:25], v[4:5], v[24:25], v[40:41]
	v_fma_f64 v[6:7], v[4:5], v[26:27], -v[6:7]
	s_waitcnt lgkmcnt(0)
	v_mul_f64 v[26:27], v[38:39], v[2:3]
	v_mul_f64 v[32:33], v[38:39], v[0:1]
	v_mov_b32_e32 v35, s2
	v_add_co_u32_e32 v34, vcc, s3, v42
	v_addc_co_u32_e32 v35, vcc, v43, v35, vcc
	global_store_dwordx4 v[34:35], v[12:15], off
	ds_read_b128 v[12:15], v227 offset:15552
	v_mul_f64 v[4:5], v[24:25], s[0:1]
	v_mul_f64 v[6:7], v[6:7], s[0:1]
	v_fma_f64 v[24:25], v[36:37], v[0:1], v[26:27]
	v_fma_f64 v[26:27], v[36:37], v[2:3], -v[32:33]
	ds_read_b128 v[0:3], v227 offset:18144
	s_waitcnt lgkmcnt(1)
	v_mul_f64 v[32:33], v[10:11], v[14:15]
	v_mul_f64 v[10:11], v[10:11], v[12:13]
	v_mov_b32_e32 v38, s2
	v_add_co_u32_e32 v34, vcc, s3, v34
	v_addc_co_u32_e32 v35, vcc, v35, v38, vcc
	global_store_dwordx4 v[34:35], v[4:7], off
	v_fma_f64 v[12:13], v[8:9], v[12:13], v[32:33]
	v_mul_f64 v[4:5], v[24:25], s[0:1]
	v_mul_f64 v[6:7], v[26:27], s[0:1]
	v_fma_f64 v[8:9], v[8:9], v[14:15], -v[10:11]
	s_waitcnt lgkmcnt(0)
	v_mul_f64 v[10:11], v[18:19], v[2:3]
	v_mul_f64 v[14:15], v[18:19], v[0:1]
	v_mov_b32_e32 v24, s2
	v_add_co_u32_e32 v18, vcc, s3, v34
	v_addc_co_u32_e32 v19, vcc, v35, v24, vcc
	global_store_dwordx4 v[18:19], v[4:7], off
	v_fma_f64 v[14:15], v[16:17], v[2:3], -v[14:15]
	v_mul_f64 v[4:5], v[12:13], s[0:1]
	v_mul_f64 v[6:7], v[8:9], s[0:1]
	v_fma_f64 v[12:13], v[16:17], v[0:1], v[10:11]
	ds_read_b128 v[0:3], v227 offset:20736
	ds_read_b128 v[8:11], v227 offset:23328
	v_add_co_u32_e32 v16, vcc, s3, v18
	v_addc_co_u32_e32 v17, vcc, v19, v24, vcc
	s_waitcnt lgkmcnt(1)
	v_mul_f64 v[18:19], v[22:23], v[2:3]
	v_mul_f64 v[22:23], v[22:23], v[0:1]
	s_waitcnt lgkmcnt(0)
	v_mul_f64 v[24:25], v[30:31], v[10:11]
	v_mul_f64 v[26:27], v[30:31], v[8:9]
	global_store_dwordx4 v[16:17], v[4:7], off
	v_fma_f64 v[0:1], v[20:21], v[0:1], v[18:19]
	v_fma_f64 v[2:3], v[20:21], v[2:3], -v[22:23]
	v_mul_f64 v[4:5], v[12:13], s[0:1]
	v_mul_f64 v[6:7], v[14:15], s[0:1]
	v_fma_f64 v[8:9], v[28:29], v[8:9], v[24:25]
	v_fma_f64 v[10:11], v[28:29], v[10:11], -v[26:27]
	v_mov_b32_e32 v13, s2
	v_add_co_u32_e32 v12, vcc, s3, v16
	v_mul_f64 v[0:1], v[0:1], s[0:1]
	v_mul_f64 v[2:3], v[2:3], s[0:1]
	v_addc_co_u32_e32 v13, vcc, v17, v13, vcc
	global_store_dwordx4 v[12:13], v[4:7], off
	v_mov_b32_e32 v14, s2
	v_mul_f64 v[4:5], v[8:9], s[0:1]
	v_mul_f64 v[6:7], v[10:11], s[0:1]
	v_add_co_u32_e32 v8, vcc, s3, v12
	v_addc_co_u32_e32 v9, vcc, v13, v14, vcc
	global_store_dwordx4 v[8:9], v[0:3], off
	s_nop 0
	v_mov_b32_e32 v1, s2
	v_add_co_u32_e32 v0, vcc, s3, v8
	v_addc_co_u32_e32 v1, vcc, v9, v1, vcc
	global_store_dwordx4 v[0:1], v[4:7], off
.LBB0_34:
	s_endpgm
	.section	.rodata,"a",@progbits
	.p2align	6, 0x0
	.amdhsa_kernel bluestein_single_fwd_len1620_dim1_dp_op_CI_CI
		.amdhsa_group_segment_fixed_size 25920
		.amdhsa_private_segment_fixed_size 44
		.amdhsa_kernarg_size 104
		.amdhsa_user_sgpr_count 6
		.amdhsa_user_sgpr_private_segment_buffer 1
		.amdhsa_user_sgpr_dispatch_ptr 0
		.amdhsa_user_sgpr_queue_ptr 0
		.amdhsa_user_sgpr_kernarg_segment_ptr 1
		.amdhsa_user_sgpr_dispatch_id 0
		.amdhsa_user_sgpr_flat_scratch_init 0
		.amdhsa_user_sgpr_private_segment_size 0
		.amdhsa_uses_dynamic_stack 0
		.amdhsa_system_sgpr_private_segment_wavefront_offset 1
		.amdhsa_system_sgpr_workgroup_id_x 1
		.amdhsa_system_sgpr_workgroup_id_y 0
		.amdhsa_system_sgpr_workgroup_id_z 0
		.amdhsa_system_sgpr_workgroup_info 0
		.amdhsa_system_vgpr_workitem_id 0
		.amdhsa_next_free_vgpr 256
		.amdhsa_next_free_sgpr 28
		.amdhsa_reserve_vcc 1
		.amdhsa_reserve_flat_scratch 0
		.amdhsa_float_round_mode_32 0
		.amdhsa_float_round_mode_16_64 0
		.amdhsa_float_denorm_mode_32 3
		.amdhsa_float_denorm_mode_16_64 3
		.amdhsa_dx10_clamp 1
		.amdhsa_ieee_mode 1
		.amdhsa_fp16_overflow 0
		.amdhsa_exception_fp_ieee_invalid_op 0
		.amdhsa_exception_fp_denorm_src 0
		.amdhsa_exception_fp_ieee_div_zero 0
		.amdhsa_exception_fp_ieee_overflow 0
		.amdhsa_exception_fp_ieee_underflow 0
		.amdhsa_exception_fp_ieee_inexact 0
		.amdhsa_exception_int_div_zero 0
	.end_amdhsa_kernel
	.text
.Lfunc_end0:
	.size	bluestein_single_fwd_len1620_dim1_dp_op_CI_CI, .Lfunc_end0-bluestein_single_fwd_len1620_dim1_dp_op_CI_CI
                                        ; -- End function
	.section	.AMDGPU.csdata,"",@progbits
; Kernel info:
; codeLenInByte = 15540
; NumSgprs: 32
; NumVgprs: 256
; ScratchSize: 44
; MemoryBound: 0
; FloatMode: 240
; IeeeMode: 1
; LDSByteSize: 25920 bytes/workgroup (compile time only)
; SGPRBlocks: 3
; VGPRBlocks: 63
; NumSGPRsForWavesPerEU: 32
; NumVGPRsForWavesPerEU: 256
; Occupancy: 1
; WaveLimiterHint : 1
; COMPUTE_PGM_RSRC2:SCRATCH_EN: 1
; COMPUTE_PGM_RSRC2:USER_SGPR: 6
; COMPUTE_PGM_RSRC2:TRAP_HANDLER: 0
; COMPUTE_PGM_RSRC2:TGID_X_EN: 1
; COMPUTE_PGM_RSRC2:TGID_Y_EN: 0
; COMPUTE_PGM_RSRC2:TGID_Z_EN: 0
; COMPUTE_PGM_RSRC2:TIDIG_COMP_CNT: 0
	.type	__hip_cuid_483881e36a1210b5,@object ; @__hip_cuid_483881e36a1210b5
	.section	.bss,"aw",@nobits
	.globl	__hip_cuid_483881e36a1210b5
__hip_cuid_483881e36a1210b5:
	.byte	0                               ; 0x0
	.size	__hip_cuid_483881e36a1210b5, 1

	.ident	"AMD clang version 19.0.0git (https://github.com/RadeonOpenCompute/llvm-project roc-6.4.0 25133 c7fe45cf4b819c5991fe208aaa96edf142730f1d)"
	.section	".note.GNU-stack","",@progbits
	.addrsig
	.addrsig_sym __hip_cuid_483881e36a1210b5
	.amdgpu_metadata
---
amdhsa.kernels:
  - .args:
      - .actual_access:  read_only
        .address_space:  global
        .offset:         0
        .size:           8
        .value_kind:     global_buffer
      - .actual_access:  read_only
        .address_space:  global
        .offset:         8
        .size:           8
        .value_kind:     global_buffer
      - .actual_access:  read_only
        .address_space:  global
        .offset:         16
        .size:           8
        .value_kind:     global_buffer
      - .actual_access:  read_only
        .address_space:  global
        .offset:         24
        .size:           8
        .value_kind:     global_buffer
      - .actual_access:  read_only
        .address_space:  global
        .offset:         32
        .size:           8
        .value_kind:     global_buffer
      - .offset:         40
        .size:           8
        .value_kind:     by_value
      - .address_space:  global
        .offset:         48
        .size:           8
        .value_kind:     global_buffer
      - .address_space:  global
        .offset:         56
        .size:           8
        .value_kind:     global_buffer
      - .address_space:  global
        .offset:         64
        .size:           8
        .value_kind:     global_buffer
      - .address_space:  global
        .offset:         72
        .size:           8
        .value_kind:     global_buffer
      - .offset:         80
        .size:           4
        .value_kind:     by_value
      - .address_space:  global
        .offset:         88
        .size:           8
        .value_kind:     global_buffer
      - .address_space:  global
        .offset:         96
        .size:           8
        .value_kind:     global_buffer
    .group_segment_fixed_size: 25920
    .kernarg_segment_align: 8
    .kernarg_segment_size: 104
    .language:       OpenCL C
    .language_version:
      - 2
      - 0
    .max_flat_workgroup_size: 162
    .name:           bluestein_single_fwd_len1620_dim1_dp_op_CI_CI
    .private_segment_fixed_size: 44
    .sgpr_count:     32
    .sgpr_spill_count: 0
    .symbol:         bluestein_single_fwd_len1620_dim1_dp_op_CI_CI.kd
    .uniform_work_group_size: 1
    .uses_dynamic_stack: false
    .vgpr_count:     256
    .vgpr_spill_count: 10
    .wavefront_size: 64
amdhsa.target:   amdgcn-amd-amdhsa--gfx906
amdhsa.version:
  - 1
  - 2
...

	.end_amdgpu_metadata
